;; amdgpu-corpus repo=ROCm/rocFFT kind=compiled arch=gfx1201 opt=O3
	.text
	.amdgcn_target "amdgcn-amd-amdhsa--gfx1201"
	.amdhsa_code_object_version 6
	.protected	bluestein_single_back_len187_dim1_dp_op_CI_CI ; -- Begin function bluestein_single_back_len187_dim1_dp_op_CI_CI
	.globl	bluestein_single_back_len187_dim1_dp_op_CI_CI
	.p2align	8
	.type	bluestein_single_back_len187_dim1_dp_op_CI_CI,@function
bluestein_single_back_len187_dim1_dp_op_CI_CI: ; @bluestein_single_back_len187_dim1_dp_op_CI_CI
; %bb.0:
	s_load_b128 s[4:7], s[0:1], 0x28
	v_mul_u32_u24_e32 v1, 0xf10, v0
	s_mov_b32 s2, exec_lo
	s_delay_alu instid0(VALU_DEP_1) | instskip(NEXT) | instid1(VALU_DEP_1)
	v_lshrrev_b32_e32 v1, 16, v1
	v_mad_co_u64_u32 v[120:121], null, ttmp9, 7, v[1:2]
	v_mov_b32_e32 v121, 0
	s_wait_kmcnt 0x0
	s_delay_alu instid0(VALU_DEP_1)
	v_cmpx_gt_u64_e64 s[4:5], v[120:121]
	s_cbranch_execz .LBB0_15
; %bb.1:
	v_mul_hi_u32 v2, 0x24924925, v120
	v_mul_lo_u16 v1, v1, 17
	s_clause 0x1
	s_load_b64 s[4:5], s[0:1], 0x0
	s_load_b64 s[12:13], s[0:1], 0x38
	s_delay_alu instid0(VALU_DEP_1) | instskip(NEXT) | instid1(VALU_DEP_3)
	v_sub_nc_u16 v0, v0, v1
	v_sub_nc_u32_e32 v3, v120, v2
	s_delay_alu instid0(VALU_DEP_2) | instskip(NEXT) | instid1(VALU_DEP_2)
	v_cmp_gt_u16_e32 vcc_lo, 11, v0
	v_lshrrev_b32_e32 v3, 1, v3
	s_delay_alu instid0(VALU_DEP_1) | instskip(NEXT) | instid1(VALU_DEP_1)
	v_add_nc_u32_e32 v2, v3, v2
	v_lshrrev_b32_e32 v2, 2, v2
	s_delay_alu instid0(VALU_DEP_1) | instskip(NEXT) | instid1(VALU_DEP_1)
	v_mul_lo_u32 v2, v2, 7
	v_sub_nc_u32_e32 v1, v120, v2
	v_and_b32_e32 v2, 0xffff, v0
	s_delay_alu instid0(VALU_DEP_2) | instskip(NEXT) | instid1(VALU_DEP_2)
	v_mul_u32_u24_e32 v255, 0xbb, v1
	v_lshlrev_b32_e32 v0, 4, v2
	scratch_store_b32 off, v0, off offset:4 ; 4-byte Folded Spill
	v_lshlrev_b32_e32 v0, 4, v255
	s_clause 0x1
	scratch_store_b32 off, v0, off offset:8
	scratch_store_b32 off, v2, off
	v_or_b32_e32 v0, 0xb0, v2
	scratch_store_b32 off, v0, off offset:124 ; 4-byte Folded Spill
	s_and_saveexec_b32 s3, vcc_lo
	s_cbranch_execz .LBB0_3
; %bb.2:
	scratch_load_b32 v174, off, off offset:4 ; 4-byte Folded Reload
	s_load_b64 s[8:9], s[0:1], 0x18
	s_wait_kmcnt 0x0
	s_load_b128 s[8:11], s[8:9], 0x0
	s_wait_loadcnt 0x0
	s_clause 0x1
	global_load_b128 v[0:3], v174, s[4:5]
	global_load_b128 v[4:7], v174, s[4:5] offset:176
	scratch_load_b32 v173, off, off         ; 4-byte Folded Reload
	s_wait_kmcnt 0x0
	v_mad_co_u64_u32 v[56:57], null, s10, v120, 0
	s_clause 0x5
	global_load_b128 v[8:11], v174, s[4:5] offset:352
	global_load_b128 v[12:15], v174, s[4:5] offset:528
	;; [unrolled: 1-line block ×6, first 2 shown]
	s_wait_loadcnt 0x6
	v_mad_co_u64_u32 v[60:61], null, s8, v173, 0
	v_mov_b32_e32 v32, v57
	v_or_b32_e32 v66, 0xb0, v173
	s_delay_alu instid0(VALU_DEP_3) | instskip(NEXT) | instid1(VALU_DEP_2)
	v_mov_b32_e32 v33, v61
	v_mad_co_u64_u32 v[62:63], null, s8, v66, 0
	s_delay_alu instid0(VALU_DEP_2)
	v_mad_co_u64_u32 v[48:49], null, s11, v120, v[32:33]
	v_mad_co_u64_u32 v[58:59], null, s9, v173, v[33:34]
	s_clause 0x3
	global_load_b128 v[32:35], v174, s[4:5] offset:1408
	global_load_b128 v[36:39], v174, s[4:5] offset:1584
	global_load_b128 v[40:43], v174, s[4:5] offset:1760
	global_load_b128 v[44:47], v174, s[4:5] offset:1936
	v_mov_b32_e32 v57, v48
	s_clause 0x1
	global_load_b128 v[48:51], v174, s[4:5] offset:2112
	global_load_b128 v[52:55], v174, s[4:5] offset:2288
	v_mov_b32_e32 v61, v58
	v_lshlrev_b64_e32 v[64:65], 4, v[56:57]
	global_load_b128 v[56:59], v174, s[4:5] offset:2816
	v_lshlrev_b64_e32 v[60:61], 4, v[60:61]
	v_mad_co_u64_u32 v[66:67], null, s9, v66, v[63:64]
	v_add_co_u32 v67, s2, s6, v64
	s_delay_alu instid0(VALU_DEP_1) | instskip(SKIP_1) | instid1(VALU_DEP_2)
	v_add_co_ci_u32_e64 v70, s2, s7, v65, s2
	s_mul_u64 s[6:7], s[8:9], 0xb0
	v_add_co_u32 v64, s2, v67, v60
	s_wait_alu 0xf1ff
	s_delay_alu instid0(VALU_DEP_2)
	v_add_co_ci_u32_e64 v65, s2, v70, v61, s2
	v_mov_b32_e32 v63, v66
	s_wait_alu 0xfffe
	v_add_co_u32 v68, s2, v64, s6
	s_wait_alu 0xf1ff
	v_add_co_ci_u32_e64 v69, s2, s7, v65, s2
	v_lshlrev_b64_e32 v[60:61], 4, v[62:63]
	s_delay_alu instid0(VALU_DEP_3) | instskip(SKIP_1) | instid1(VALU_DEP_3)
	v_add_co_u32 v72, s2, v68, s6
	s_wait_alu 0xf1ff
	v_add_co_ci_u32_e64 v73, s2, s7, v69, s2
	s_delay_alu instid0(VALU_DEP_3)
	v_add_co_u32 v60, s2, v67, v60
	s_wait_alu 0xf1ff
	v_add_co_ci_u32_e64 v61, s2, v70, v61, s2
	v_add_co_u32 v76, s2, v72, s6
	s_wait_alu 0xf1ff
	v_add_co_ci_u32_e64 v77, s2, s7, v73, s2
	global_load_b128 v[60:63], v[60:61], off
	v_add_co_u32 v80, s2, v76, s6
	s_wait_alu 0xf1ff
	v_add_co_ci_u32_e64 v81, s2, s7, v77, s2
	s_clause 0x1
	global_load_b128 v[64:67], v[64:65], off
	global_load_b128 v[68:71], v[68:69], off
	v_add_co_u32 v84, s2, v80, s6
	s_wait_alu 0xf1ff
	v_add_co_ci_u32_e64 v85, s2, s7, v81, s2
	s_clause 0x1
	global_load_b128 v[72:75], v[72:73], off
	global_load_b128 v[76:79], v[76:77], off
	v_add_co_u32 v88, s2, v84, s6
	s_wait_alu 0xf1ff
	v_add_co_ci_u32_e64 v89, s2, s7, v85, s2
	global_load_b128 v[80:83], v[80:81], off
	v_add_co_u32 v92, s2, v88, s6
	s_wait_alu 0xf1ff
	v_add_co_ci_u32_e64 v93, s2, s7, v89, s2
	global_load_b128 v[84:87], v[84:85], off
	v_add_co_u32 v96, s2, v92, s6
	s_wait_alu 0xf1ff
	v_add_co_ci_u32_e64 v97, s2, s7, v93, s2
	global_load_b128 v[88:91], v[88:89], off
	v_add_co_u32 v100, s2, v96, s6
	s_wait_alu 0xf1ff
	v_add_co_ci_u32_e64 v101, s2, s7, v97, s2
	global_load_b128 v[92:95], v[92:93], off
	v_add_co_u32 v104, s2, v100, s6
	s_wait_alu 0xf1ff
	v_add_co_ci_u32_e64 v105, s2, s7, v101, s2
	global_load_b128 v[96:99], v[96:97], off
	v_add_co_u32 v108, s2, v104, s6
	s_wait_alu 0xf1ff
	v_add_co_ci_u32_e64 v109, s2, s7, v105, s2
	global_load_b128 v[100:103], v[100:101], off
	v_add_co_u32 v112, s2, v108, s6
	s_wait_alu 0xf1ff
	v_add_co_ci_u32_e64 v113, s2, s7, v109, s2
	global_load_b128 v[104:107], v[104:105], off
	v_add_co_u32 v116, s2, v112, s6
	s_wait_alu 0xf1ff
	v_add_co_ci_u32_e64 v117, s2, s7, v113, s2
	global_load_b128 v[108:111], v[108:109], off
	v_add_co_u32 v121, s2, v116, s6
	s_wait_alu 0xf1ff
	v_add_co_ci_u32_e64 v122, s2, s7, v117, s2
	global_load_b128 v[112:115], v[112:113], off
	v_add_co_u32 v133, s2, v121, s6
	s_wait_alu 0xf1ff
	v_add_co_ci_u32_e64 v134, s2, s7, v122, s2
	global_load_b128 v[116:119], v[116:117], off
	global_load_b128 v[121:124], v[121:122], off
	s_clause 0x1
	global_load_b128 v[125:128], v174, s[4:5] offset:2464
	global_load_b128 v[129:132], v174, s[4:5] offset:2640
	global_load_b128 v[133:136], v[133:134], off
	s_wait_loadcnt 0x12
	v_mul_f64_e32 v[139:140], v[62:63], v[58:59]
	v_mul_f64_e32 v[171:172], v[60:61], v[58:59]
	s_wait_loadcnt 0x11
	v_mul_f64_e32 v[137:138], v[66:67], v[2:3]
	v_mul_f64_e32 v[2:3], v[64:65], v[2:3]
	;; [unrolled: 3-line block ×11, first 2 shown]
	v_fma_f64 v[64:65], v[64:65], v[0:1], v[137:138]
	v_fma_f64 v[66:67], v[66:67], v[0:1], -v[2:3]
	v_fma_f64 v[0:1], v[60:61], v[56:57], v[139:140]
	s_wait_loadcnt 0x7
	v_mul_f64_e32 v[159:160], v[106:107], v[42:43]
	v_mul_f64_e32 v[42:43], v[104:105], v[42:43]
	v_fma_f64 v[58:59], v[68:69], v[4:5], v[141:142]
	v_fma_f64 v[60:61], v[70:71], v[4:5], -v[6:7]
	v_fma_f64 v[4:5], v[72:73], v[8:9], v[143:144]
	s_wait_loadcnt 0x6
	v_mul_f64_e32 v[161:162], v[110:111], v[46:47]
	v_mul_f64_e32 v[46:47], v[108:109], v[46:47]
	v_fma_f64 v[6:7], v[74:75], v[8:9], -v[10:11]
	v_fma_f64 v[8:9], v[76:77], v[12:13], v[145:146]
	v_fma_f64 v[10:11], v[78:79], v[12:13], -v[14:15]
	s_wait_loadcnt 0x5
	v_mul_f64_e32 v[163:164], v[114:115], v[50:51]
	v_mul_f64_e32 v[50:51], v[112:113], v[50:51]
	s_wait_loadcnt 0x4
	v_mul_f64_e32 v[165:166], v[118:119], v[54:55]
	v_mul_f64_e32 v[54:55], v[116:117], v[54:55]
	;; [unrolled: 3-line block ×4, first 2 shown]
	v_fma_f64 v[12:13], v[80:81], v[16:17], v[147:148]
	v_fma_f64 v[14:15], v[82:83], v[16:17], -v[18:19]
	v_fma_f64 v[16:17], v[84:85], v[20:21], v[149:150]
	v_fma_f64 v[18:19], v[86:87], v[20:21], -v[22:23]
	;; [unrolled: 2-line block ×4, first 2 shown]
	v_fma_f64 v[2:3], v[62:63], v[56:57], -v[171:172]
	v_lshlrev_b32_e32 v57, 4, v255
	v_fma_f64 v[28:29], v[96:97], v[32:33], v[155:156]
	v_fma_f64 v[30:31], v[98:99], v[32:33], -v[34:35]
	s_delay_alu instid0(VALU_DEP_3)
	v_lshl_add_u32 v56, v173, 4, v57
	v_fma_f64 v[32:33], v[100:101], v[36:37], v[157:158]
	v_fma_f64 v[34:35], v[102:103], v[36:37], -v[38:39]
	v_add_nc_u32_e32 v57, v57, v174
	v_fma_f64 v[36:37], v[104:105], v[40:41], v[159:160]
	v_fma_f64 v[38:39], v[106:107], v[40:41], -v[42:43]
	v_fma_f64 v[40:41], v[108:109], v[44:45], v[161:162]
	v_fma_f64 v[42:43], v[110:111], v[44:45], -v[46:47]
	;; [unrolled: 2-line block ×6, first 2 shown]
	ds_store_b128 v56, v[64:67]
	ds_store_b128 v57, v[58:61] offset:176
	ds_store_b128 v57, v[4:7] offset:352
	;; [unrolled: 1-line block ×16, first 2 shown]
.LBB0_3:
	s_or_b32 exec_lo, exec_lo, s3
	s_clause 0x1
	s_load_b64 s[2:3], s[0:1], 0x20
	s_load_b64 s[6:7], s[0:1], 0x8
	global_wb scope:SCOPE_SE
	s_wait_storecnt_dscnt 0x0
	s_wait_kmcnt 0x0
	s_barrier_signal -1
	s_barrier_wait -1
	global_inv scope:SCOPE_SE
                                        ; implicit-def: $vgpr24_vgpr25
                                        ; implicit-def: $vgpr40_vgpr41
                                        ; implicit-def: $vgpr44_vgpr45
                                        ; implicit-def: $vgpr48_vgpr49
                                        ; implicit-def: $vgpr52_vgpr53
                                        ; implicit-def: $vgpr56_vgpr57
                                        ; implicit-def: $vgpr60_vgpr61
                                        ; implicit-def: $vgpr64_vgpr65
                                        ; implicit-def: $vgpr72_vgpr73
                                        ; implicit-def: $vgpr76_vgpr77
                                        ; implicit-def: $vgpr80_vgpr81
                                        ; implicit-def: $vgpr84_vgpr85
                                        ; implicit-def: $vgpr88_vgpr89
                                        ; implicit-def: $vgpr68_vgpr69
                                        ; implicit-def: $vgpr36_vgpr37
                                        ; implicit-def: $vgpr32_vgpr33
                                        ; implicit-def: $vgpr28_vgpr29
	s_and_saveexec_b32 s0, vcc_lo
	s_cbranch_execz .LBB0_5
; %bb.4:
	scratch_load_b32 v0, off, off offset:4  ; 4-byte Folded Reload
	s_wait_loadcnt 0x0
	v_lshl_add_u32 v0, v255, 4, v0
	ds_load_b128 v[24:27], v0
	ds_load_b128 v[40:43], v0 offset:176
	ds_load_b128 v[44:47], v0 offset:352
	ds_load_b128 v[48:51], v0 offset:528
	ds_load_b128 v[52:55], v0 offset:704
	ds_load_b128 v[56:59], v0 offset:880
	ds_load_b128 v[60:63], v0 offset:1056
	ds_load_b128 v[64:67], v0 offset:1232
	ds_load_b128 v[72:75], v0 offset:1408
	ds_load_b128 v[76:79], v0 offset:1584
	ds_load_b128 v[80:83], v0 offset:1760
	ds_load_b128 v[84:87], v0 offset:1936
	ds_load_b128 v[88:91], v0 offset:2112
	ds_load_b128 v[68:71], v0 offset:2288
	ds_load_b128 v[36:39], v0 offset:2464
	ds_load_b128 v[32:35], v0 offset:2640
	ds_load_b128 v[28:31], v0 offset:2816
.LBB0_5:
	s_wait_alu 0xfffe
	s_or_b32 exec_lo, exec_lo, s0
	s_wait_dscnt 0x0
	v_add_f64_e64 v[157:158], v[42:43], -v[30:31]
	v_add_f64_e64 v[104:105], v[46:47], -v[34:35]
	s_mov_b32 s0, 0x5d8e7cdc
	s_mov_b32 s10, 0x2a9d6da3
	;; [unrolled: 1-line block ×4, first 2 shown]
	v_add_f64_e32 v[149:150], v[40:41], v[28:29]
	v_add_f64_e64 v[106:107], v[44:45], -v[32:33]
	s_mov_b32 s8, 0x370991
	s_mov_b32 s9, 0x3fedd6d0
	v_add_f64_e32 v[92:93], v[44:45], v[32:33]
	s_mov_b32 s14, 0x75d4884
	s_mov_b32 s15, 0x3fe7a5f6
	v_add_f64_e64 v[187:188], v[40:41], -v[28:29]
	v_add_f64_e32 v[183:184], v[42:43], v[30:31]
	v_add_f64_e32 v[96:97], v[46:47], v[34:35]
	v_add_f64_e64 v[116:117], v[50:51], -v[38:39]
	s_mov_b32 s18, 0x7c9e640b
	s_mov_b32 s19, 0xbfeca52d
	v_add_f64_e32 v[100:101], v[48:49], v[36:37]
	s_mov_b32 s16, 0x2b2883cd
	s_mov_b32 s24, 0xeb564b22
	;; [unrolled: 1-line block ×4, first 2 shown]
	v_add_f64_e64 v[118:119], v[48:49], -v[36:37]
	v_add_f64_e32 v[112:113], v[50:51], v[38:39]
	s_mov_b32 s34, 0x6c9a05f6
	s_mov_b32 s35, 0xbfe9895b
	v_add_f64_e64 v[125:126], v[54:55], -v[70:71]
	v_add_f64_e32 v[108:109], v[52:53], v[68:69]
	s_mov_b32 s20, 0x3259b75e
	s_mov_b32 s21, 0x3fb79ee6
	;; [unrolled: 4-line block ×3, first 2 shown]
	v_add_f64_e64 v[133:134], v[58:59], -v[90:91]
	s_mov_b32 s26, 0x923c349f
	s_wait_alu 0xfffe
	v_mul_f64_e32 v[0:1], s[0:1], v[157:158]
	v_mul_f64_e32 v[2:3], s[10:11], v[104:105]
	;; [unrolled: 1-line block ×5, first 2 shown]
	s_mov_b32 s27, 0xbfeec746
	v_add_f64_e32 v[121:122], v[56:57], v[88:89]
	v_mul_f64_e32 v[4:5], s[10:11], v[106:107]
	v_mul_f64_e32 v[8:9], s[24:25], v[106:107]
	s_mov_b32 s22, 0xc61f0d01
	s_mov_b32 s23, 0xbfd183b1
	v_add_f64_e64 v[147:148], v[56:57], -v[88:89]
	v_mul_f64_e32 v[12:13], s[34:35], v[106:107]
	v_add_f64_e32 v[139:140], v[58:59], v[90:91]
	v_add_f64_e64 v[167:168], v[62:63], -v[86:87]
	v_mul_f64_e32 v[16:17], s[38:39], v[106:107]
	v_add_f64_e32 v[135:136], v[60:61], v[84:85]
	s_mov_b32 s28, 0x6ed5f1bb
	s_mov_b32 s56, 0x4363dd80
	;; [unrolled: 1-line block ×4, first 2 shown]
	v_add_f64_e64 v[169:170], v[60:61], -v[84:85]
	v_mul_f64_e32 v[18:19], s[56:57], v[104:105]
	v_add_f64_e32 v[153:154], v[62:63], v[86:87]
	v_add_f64_e64 v[175:176], v[66:67], -v[82:83]
	s_mov_b32 s55, 0xbfe0d888
	s_mov_b32 s54, s56
	v_add_f64_e32 v[143:144], v[64:65], v[80:81]
	s_mov_b32 s30, 0x910ea3b9
	s_mov_b32 s31, 0xbfeb34fa
	;; [unrolled: 1-line block ×4, first 2 shown]
	v_add_f64_e64 v[177:178], v[64:65], -v[80:81]
	v_mul_f64_e32 v[22:23], s[40:41], v[104:105]
	v_add_f64_e32 v[163:164], v[66:67], v[82:83]
	v_add_f64_e64 v[179:180], v[74:75], -v[78:79]
	v_add_f64_e32 v[159:160], v[72:73], v[76:77]
	s_mov_b32 s36, 0x7faef3
	s_mov_b32 s37, 0xbfef7484
	s_clause 0x1
	scratch_store_b64 off, v[2:3], off offset:12
	scratch_store_b64 off, v[0:1], off offset:168
	v_fma_f64 v[0:1], v[149:150], s[8:9], v[0:1]
	v_fma_f64 v[2:3], v[92:93], s[14:15], v[2:3]
	v_add_f64_e64 v[181:182], v[72:73], -v[76:77]
	v_add_f64_e32 v[171:172], v[74:75], v[78:79]
	scratch_store_b64 off, v[4:5], off offset:28 ; 8-byte Folded Spill
	v_fma_f64 v[4:5], v[96:97], s[14:15], -v[4:5]
	v_mul_f64_e32 v[231:232], s[10:11], v[157:158]
	v_mul_f64_e32 v[233:234], s[10:11], v[187:188]
	s_mov_b32 s45, 0x3feca52d
	s_mov_b32 s44, s18
	;; [unrolled: 1-line block ×4, first 2 shown]
	v_mul_f64_e32 v[235:236], s[18:19], v[157:158]
	v_mul_f64_e32 v[237:238], s[18:19], v[187:188]
	s_mov_b32 s47, 0x3fc7851a
	s_mov_b32 s46, s38
	;; [unrolled: 1-line block ×4, first 2 shown]
	v_mul_f64_e32 v[114:115], s[0:1], v[167:168]
	v_mul_f64_e32 v[137:138], s[48:49], v[147:148]
	;; [unrolled: 1-line block ×12, first 2 shown]
	s_mov_b32 s51, 0x3fe9895b
	s_mov_b32 s50, s34
	v_mul_f64_e32 v[94:95], s[48:49], v[179:180]
	v_mul_f64_e32 v[110:111], s[50:51], v[175:176]
	;; [unrolled: 1-line block ×6, first 2 shown]
	v_add_f64_e32 v[0:1], v[24:25], v[0:1]
	v_mul_f64_e32 v[165:166], s[48:49], v[118:119]
	v_mul_f64_e32 v[145:146], s[48:49], v[181:182]
	;; [unrolled: 1-line block ×5, first 2 shown]
	s_mov_b32 s53, 0x3fefdd0d
	s_mov_b32 s52, s24
	v_mul_f64_e32 v[185:186], s[0:1], v[175:176]
	v_mul_f64_e32 v[211:212], s[52:53], v[167:168]
	;; [unrolled: 1-line block ×17, first 2 shown]
	scratch_store_b64 off, v[6:7], off offset:216 ; 8-byte Folded Spill
	v_fma_f64 v[6:7], v[92:93], s[20:21], v[6:7]
	scratch_store_b64 off, v[8:9], off offset:240 ; 8-byte Folded Spill
	v_fma_f64 v[8:9], v[96:97], s[20:21], -v[8:9]
	scratch_store_b64 off, v[10:11], off offset:272 ; 8-byte Folded Spill
	v_fma_f64 v[10:11], v[92:93], s[28:29], v[10:11]
	scratch_store_b64 off, v[14:15], off offset:344 ; 8-byte Folded Spill
	v_fma_f64 v[14:15], v[92:93], s[36:37], v[14:15]
	scratch_store_b64 off, v[12:13], off offset:336 ; 8-byte Folded Spill
	v_fma_f64 v[12:13], v[96:97], s[28:29], -v[12:13]
	scratch_store_b64 off, v[16:17], off offset:408 ; 8-byte Folded Spill
	v_fma_f64 v[16:17], v[96:97], s[36:37], -v[16:17]
	v_fma_f64 v[20:21], v[96:97], s[30:31], -v[102:103]
	v_add_f64_e32 v[0:1], v[2:3], v[0:1]
	v_mul_f64_e32 v[2:3], s[0:1], v[187:188]
	scratch_store_b64 off, v[18:19], off offset:384 ; 8-byte Folded Spill
	v_fma_f64 v[18:19], v[92:93], s[30:31], v[18:19]
	scratch_store_b64 off, v[22:23], off offset:448 ; 8-byte Folded Spill
	v_fma_f64 v[22:23], v[92:93], s[22:23], v[22:23]
	v_fma_f64 v[129:130], v[96:97], s[22:23], -v[173:174]
	scratch_store_b64 off, v[2:3], off offset:208 ; 8-byte Folded Spill
	v_fma_f64 v[2:3], v[183:184], s[8:9], -v[2:3]
	s_delay_alu instid0(VALU_DEP_1) | instskip(NEXT) | instid1(VALU_DEP_1)
	v_add_f64_e32 v[2:3], v[26:27], v[2:3]
	v_add_f64_e32 v[2:3], v[4:5], v[2:3]
	v_mul_f64_e32 v[4:5], s[18:19], v[116:117]
	scratch_store_b64 off, v[4:5], off offset:44 ; 8-byte Folded Spill
	v_fma_f64 v[4:5], v[100:101], s[16:17], v[4:5]
	s_delay_alu instid0(VALU_DEP_1) | instskip(SKIP_3) | instid1(VALU_DEP_1)
	v_add_f64_e32 v[0:1], v[4:5], v[0:1]
	v_mul_f64_e32 v[4:5], s[18:19], v[118:119]
	scratch_store_b64 off, v[4:5], off offset:76 ; 8-byte Folded Spill
	v_fma_f64 v[4:5], v[112:113], s[16:17], -v[4:5]
	v_add_f64_e32 v[2:3], v[4:5], v[2:3]
	v_mul_f64_e32 v[4:5], s[24:25], v[125:126]
	scratch_store_b64 off, v[4:5], off offset:60 ; 8-byte Folded Spill
	v_fma_f64 v[4:5], v[108:109], s[20:21], v[4:5]
	s_delay_alu instid0(VALU_DEP_1) | instskip(SKIP_3) | instid1(VALU_DEP_1)
	v_add_f64_e32 v[0:1], v[4:5], v[0:1]
	v_mul_f64_e32 v[4:5], s[24:25], v[131:132]
	scratch_store_b64 off, v[4:5], off offset:108 ; 8-byte Folded Spill
	v_fma_f64 v[4:5], v[127:128], s[20:21], -v[4:5]
	;; [unrolled: 9-line block ×6, first 2 shown]
	v_add_f64_e32 v[2:3], v[4:5], v[2:3]
	v_fma_f64 v[4:5], v[149:150], s[14:15], v[231:232]
	s_delay_alu instid0(VALU_DEP_1) | instskip(NEXT) | instid1(VALU_DEP_1)
	v_add_f64_e32 v[4:5], v[24:25], v[4:5]
	v_add_f64_e32 v[4:5], v[6:7], v[4:5]
	v_fma_f64 v[6:7], v[183:184], s[14:15], -v[233:234]
	s_delay_alu instid0(VALU_DEP_1) | instskip(NEXT) | instid1(VALU_DEP_1)
	v_add_f64_e32 v[6:7], v[26:27], v[6:7]
	v_add_f64_e32 v[6:7], v[8:9], v[6:7]
	v_mul_f64_e32 v[8:9], s[34:35], v[116:117]
	scratch_store_b64 off, v[8:9], off offset:224 ; 8-byte Folded Spill
	v_fma_f64 v[8:9], v[100:101], s[28:29], v[8:9]
	s_delay_alu instid0(VALU_DEP_1) | instskip(SKIP_3) | instid1(VALU_DEP_1)
	v_add_f64_e32 v[4:5], v[8:9], v[4:5]
	v_mul_f64_e32 v[8:9], s[34:35], v[118:119]
	scratch_store_b64 off, v[8:9], off offset:248 ; 8-byte Folded Spill
	v_fma_f64 v[8:9], v[112:113], s[28:29], -v[8:9]
	v_add_f64_e32 v[6:7], v[8:9], v[6:7]
	v_mul_f64_e32 v[8:9], s[38:39], v[125:126]
	scratch_store_b64 off, v[8:9], off offset:232 ; 8-byte Folded Spill
	v_fma_f64 v[8:9], v[108:109], s[36:37], v[8:9]
	s_delay_alu instid0(VALU_DEP_1) | instskip(SKIP_3) | instid1(VALU_DEP_1)
	v_add_f64_e32 v[4:5], v[8:9], v[4:5]
	v_mul_f64_e32 v[8:9], s[38:39], v[131:132]
	scratch_store_b64 off, v[8:9], off offset:280 ; 8-byte Folded Spill
	v_fma_f64 v[8:9], v[127:128], s[36:37], -v[8:9]
	;; [unrolled: 9-line block ×6, first 2 shown]
	v_add_f64_e32 v[6:7], v[8:9], v[6:7]
	v_fma_f64 v[8:9], v[149:150], s[16:17], v[235:236]
	s_delay_alu instid0(VALU_DEP_1) | instskip(NEXT) | instid1(VALU_DEP_1)
	v_add_f64_e32 v[8:9], v[24:25], v[8:9]
	v_add_f64_e32 v[8:9], v[10:11], v[8:9]
	v_fma_f64 v[10:11], v[183:184], s[16:17], -v[237:238]
	s_delay_alu instid0(VALU_DEP_1) | instskip(NEXT) | instid1(VALU_DEP_1)
	v_add_f64_e32 v[10:11], v[26:27], v[10:11]
	v_add_f64_e32 v[10:11], v[12:13], v[10:11]
	v_mul_f64_e32 v[12:13], s[46:47], v[116:117]
	scratch_store_b64 off, v[12:13], off offset:304 ; 8-byte Folded Spill
	v_fma_f64 v[12:13], v[100:101], s[36:37], v[12:13]
	s_delay_alu instid0(VALU_DEP_1) | instskip(SKIP_3) | instid1(VALU_DEP_1)
	v_add_f64_e32 v[8:9], v[12:13], v[8:9]
	v_mul_f64_e32 v[12:13], s[46:47], v[118:119]
	scratch_store_b64 off, v[12:13], off offset:368 ; 8-byte Folded Spill
	v_fma_f64 v[12:13], v[112:113], s[36:37], -v[12:13]
	v_add_f64_e32 v[10:11], v[12:13], v[10:11]
	v_mul_f64_e32 v[12:13], s[40:41], v[125:126]
	scratch_store_b64 off, v[12:13], off offset:312 ; 8-byte Folded Spill
	v_fma_f64 v[12:13], v[108:109], s[22:23], v[12:13]
	s_delay_alu instid0(VALU_DEP_1) | instskip(SKIP_3) | instid1(VALU_DEP_1)
	v_add_f64_e32 v[8:9], v[12:13], v[8:9]
	v_mul_f64_e32 v[12:13], s[40:41], v[131:132]
	scratch_store_b64 off, v[12:13], off offset:432 ; 8-byte Folded Spill
	v_fma_f64 v[12:13], v[127:128], s[22:23], -v[12:13]
	v_add_f64_e32 v[10:11], v[12:13], v[10:11]
	v_mul_f64_e32 v[12:13], s[48:49], v[133:134]
	scratch_store_b64 off, v[12:13], off offset:416 ; 8-byte Folded Spill
	v_fma_f64 v[12:13], v[121:122], s[14:15], v[12:13]
	s_delay_alu instid0(VALU_DEP_1) | instskip(SKIP_1) | instid1(VALU_DEP_1)
	v_add_f64_e32 v[8:9], v[12:13], v[8:9]
	v_fma_f64 v[12:13], v[139:140], s[14:15], -v[137:138]
	v_add_f64_e32 v[10:11], v[12:13], v[10:11]
	v_fma_f64 v[12:13], v[135:136], s[8:9], v[114:115]
	s_delay_alu instid0(VALU_DEP_1) | instskip(SKIP_1) | instid1(VALU_DEP_1)
	v_add_f64_e32 v[8:9], v[12:13], v[8:9]
	v_fma_f64 v[12:13], v[153:154], s[8:9], -v[197:198]
	v_add_f64_e32 v[10:11], v[12:13], v[10:11]
	v_mul_f64_e32 v[12:13], s[24:25], v[175:176]
	scratch_store_b64 off, v[12:13], off offset:424 ; 8-byte Folded Spill
	v_fma_f64 v[12:13], v[143:144], s[20:21], v[12:13]
	s_delay_alu instid0(VALU_DEP_1) | instskip(SKIP_1) | instid1(VALU_DEP_1)
	v_add_f64_e32 v[8:9], v[12:13], v[8:9]
	v_fma_f64 v[12:13], v[163:164], s[20:21], -v[253:254]
	v_add_f64_e32 v[10:11], v[12:13], v[10:11]
	v_mul_f64_e32 v[12:13], s[54:55], v[179:180]
	scratch_store_b64 off, v[12:13], off offset:400 ; 8-byte Folded Spill
	v_fma_f64 v[12:13], v[159:160], s[30:31], v[12:13]
	s_delay_alu instid0(VALU_DEP_1) | instskip(SKIP_3) | instid1(VALU_DEP_1)
	v_add_f64_e32 v[8:9], v[12:13], v[8:9]
	v_mul_f64_e32 v[12:13], s[54:55], v[181:182]
	scratch_store_b64 off, v[12:13], off offset:464 ; 8-byte Folded Spill
	v_fma_f64 v[12:13], v[171:172], s[30:31], -v[12:13]
	v_add_f64_e32 v[10:11], v[12:13], v[10:11]
	v_fma_f64 v[12:13], v[149:150], s[20:21], v[239:240]
	s_delay_alu instid0(VALU_DEP_1) | instskip(NEXT) | instid1(VALU_DEP_1)
	v_add_f64_e32 v[12:13], v[24:25], v[12:13]
	v_add_f64_e32 v[12:13], v[14:15], v[12:13]
	v_fma_f64 v[14:15], v[183:184], s[20:21], -v[241:242]
	s_delay_alu instid0(VALU_DEP_1) | instskip(NEXT) | instid1(VALU_DEP_1)
	v_add_f64_e32 v[14:15], v[26:27], v[14:15]
	v_add_f64_e32 v[14:15], v[16:17], v[14:15]
	v_mul_f64_e32 v[16:17], s[40:41], v[116:117]
	scratch_store_b64 off, v[16:17], off offset:376 ; 8-byte Folded Spill
	v_fma_f64 v[16:17], v[100:101], s[22:23], v[16:17]
	s_delay_alu instid0(VALU_DEP_1) | instskip(SKIP_1) | instid1(VALU_DEP_1)
	v_add_f64_e32 v[12:13], v[16:17], v[12:13]
	v_fma_f64 v[16:17], v[112:113], s[22:23], -v[98:99]
	v_add_f64_e32 v[14:15], v[16:17], v[14:15]
	v_mul_f64_e32 v[16:17], s[42:43], v[125:126]
	scratch_store_b64 off, v[16:17], off offset:392 ; 8-byte Folded Spill
	v_fma_f64 v[16:17], v[108:109], s[8:9], v[16:17]
	s_delay_alu instid0(VALU_DEP_1) | instskip(SKIP_1) | instid1(VALU_DEP_1)
	v_add_f64_e32 v[12:13], v[16:17], v[12:13]
	v_fma_f64 v[16:17], v[127:128], s[8:9], -v[151:152]
	v_add_f64_e32 v[14:15], v[16:17], v[14:15]
	v_fma_f64 v[16:17], v[121:122], s[16:17], v[123:124]
	s_delay_alu instid0(VALU_DEP_1) | instskip(SKIP_1) | instid1(VALU_DEP_1)
	v_add_f64_e32 v[12:13], v[16:17], v[12:13]
	v_fma_f64 v[16:17], v[139:140], s[16:17], -v[195:196]
	v_add_f64_e32 v[14:15], v[16:17], v[14:15]
	;; [unrolled: 5-line block ×5, first 2 shown]
	v_fma_f64 v[16:17], v[149:150], s[22:23], v[243:244]
	s_delay_alu instid0(VALU_DEP_1) | instskip(NEXT) | instid1(VALU_DEP_1)
	v_add_f64_e32 v[16:17], v[24:25], v[16:17]
	v_add_f64_e32 v[16:17], v[18:19], v[16:17]
	v_fma_f64 v[18:19], v[183:184], s[22:23], -v[245:246]
	s_delay_alu instid0(VALU_DEP_1) | instskip(NEXT) | instid1(VALU_DEP_1)
	v_add_f64_e32 v[18:19], v[26:27], v[18:19]
	v_add_f64_e32 v[18:19], v[20:21], v[18:19]
	v_mul_f64_e32 v[20:21], s[48:49], v[116:117]
	scratch_store_b64 off, v[20:21], off offset:440 ; 8-byte Folded Spill
	v_fma_f64 v[20:21], v[100:101], s[14:15], v[20:21]
	s_delay_alu instid0(VALU_DEP_1) | instskip(SKIP_1) | instid1(VALU_DEP_1)
	v_add_f64_e32 v[16:17], v[20:21], v[16:17]
	v_fma_f64 v[20:21], v[112:113], s[14:15], -v[165:166]
	v_add_f64_e32 v[18:19], v[20:21], v[18:19]
	v_mul_f64_e32 v[20:21], s[18:19], v[125:126]
	scratch_store_b64 off, v[20:21], off offset:456 ; 8-byte Folded Spill
	v_fma_f64 v[20:21], v[108:109], s[16:17], v[20:21]
	global_wb scope:SCOPE_SE
	s_wait_storecnt 0x0
	s_barrier_signal -1
	s_barrier_wait -1
	global_inv scope:SCOPE_SE
	v_add_f64_e32 v[16:17], v[20:21], v[16:17]
	v_fma_f64 v[20:21], v[127:128], s[16:17], -v[201:202]
	s_delay_alu instid0(VALU_DEP_1) | instskip(SKIP_1) | instid1(VALU_DEP_1)
	v_add_f64_e32 v[18:19], v[20:21], v[18:19]
	v_fma_f64 v[20:21], v[121:122], s[36:37], v[191:192]
	v_add_f64_e32 v[16:17], v[20:21], v[16:17]
	v_fma_f64 v[20:21], v[139:140], s[36:37], -v[219:220]
	s_delay_alu instid0(VALU_DEP_1) | instskip(SKIP_1) | instid1(VALU_DEP_1)
	v_add_f64_e32 v[18:19], v[20:21], v[18:19]
	v_fma_f64 v[20:21], v[135:136], s[20:21], v[211:212]
	;; [unrolled: 5-line block ×5, first 2 shown]
	v_add_f64_e32 v[20:21], v[24:25], v[20:21]
	s_delay_alu instid0(VALU_DEP_1) | instskip(SKIP_1) | instid1(VALU_DEP_1)
	v_add_f64_e32 v[20:21], v[22:23], v[20:21]
	v_fma_f64 v[22:23], v[183:184], s[28:29], -v[249:250]
	v_add_f64_e32 v[22:23], v[26:27], v[22:23]
	s_delay_alu instid0(VALU_DEP_1) | instskip(SKIP_1) | instid1(VALU_DEP_1)
	v_add_f64_e32 v[22:23], v[129:130], v[22:23]
	v_mul_f64_e32 v[129:130], s[0:1], v[116:117]
	v_fma_f64 v[141:142], v[100:101], s[8:9], v[129:130]
	s_delay_alu instid0(VALU_DEP_1) | instskip(SKIP_1) | instid1(VALU_DEP_1)
	v_add_f64_e32 v[20:21], v[141:142], v[20:21]
	v_fma_f64 v[141:142], v[112:113], s[8:9], -v[207:208]
	v_add_f64_e32 v[22:23], v[141:142], v[22:23]
	v_mul_f64_e32 v[141:142], s[54:55], v[125:126]
	s_delay_alu instid0(VALU_DEP_1) | instskip(NEXT) | instid1(VALU_DEP_1)
	v_fma_f64 v[193:194], v[108:109], s[30:31], v[141:142]
	v_add_f64_e32 v[20:21], v[193:194], v[20:21]
	v_fma_f64 v[193:194], v[127:128], s[30:31], -v[221:222]
	s_delay_alu instid0(VALU_DEP_1) | instskip(SKIP_1) | instid1(VALU_DEP_1)
	v_add_f64_e32 v[22:23], v[193:194], v[22:23]
	v_fma_f64 v[193:194], v[121:122], s[20:21], v[209:210]
	v_add_f64_e32 v[20:21], v[193:194], v[20:21]
	v_fma_f64 v[193:194], v[139:140], s[20:21], -v[225:226]
	s_delay_alu instid0(VALU_DEP_1) | instskip(SKIP_1) | instid1(VALU_DEP_1)
	v_add_f64_e32 v[22:23], v[193:194], v[22:23]
	;; [unrolled: 5-line block ×4, first 2 shown]
	v_mul_f64_e32 v[193:194], s[44:45], v[179:180]
	v_fma_f64 v[213:214], v[159:160], s[16:17], v[193:194]
	s_delay_alu instid0(VALU_DEP_1) | instskip(SKIP_1) | instid1(VALU_DEP_1)
	v_add_f64_e32 v[20:21], v[213:214], v[20:21]
	v_mul_f64_e32 v[213:214], s[44:45], v[181:182]
	v_fma_f64 v[251:252], v[171:172], s[16:17], -v[213:214]
	s_delay_alu instid0(VALU_DEP_1)
	v_add_f64_e32 v[22:23], v[251:252], v[22:23]
	s_and_saveexec_b32 s33, vcc_lo
	s_cbranch_execz .LBB0_7
; %bb.6:
	v_add_f64_e32 v[40:41], v[24:25], v[40:41]
	v_add_f64_e32 v[42:43], v[26:27], v[42:43]
	s_delay_alu instid0(VALU_DEP_2) | instskip(NEXT) | instid1(VALU_DEP_2)
	v_add_f64_e32 v[40:41], v[40:41], v[44:45]
	v_add_f64_e32 v[42:43], v[42:43], v[46:47]
	v_mul_f64_e32 v[44:45], s[22:23], v[183:184]
	v_mul_f64_e32 v[46:47], s[22:23], v[149:150]
	s_delay_alu instid0(VALU_DEP_4) | instskip(NEXT) | instid1(VALU_DEP_4)
	v_add_f64_e32 v[40:41], v[40:41], v[48:49]
	v_add_f64_e32 v[42:43], v[42:43], v[50:51]
	v_mul_f64_e32 v[48:49], s[20:21], v[183:184]
	v_add_f64_e32 v[44:45], v[245:246], v[44:45]
	v_mul_f64_e32 v[50:51], s[20:21], v[149:150]
	v_add_f64_e64 v[46:47], v[46:47], -v[243:244]
	v_add_f64_e32 v[40:41], v[40:41], v[52:53]
	v_add_f64_e32 v[42:43], v[42:43], v[54:55]
	v_add_f64_e32 v[48:49], v[241:242], v[48:49]
	v_mul_f64_e32 v[54:55], s[16:17], v[149:150]
	v_add_f64_e64 v[50:51], v[50:51], -v[239:240]
	v_mul_f64_e32 v[52:53], s[16:17], v[183:184]
	v_add_f64_e32 v[40:41], v[40:41], v[56:57]
	v_add_f64_e32 v[42:43], v[42:43], v[58:59]
	v_mul_f64_e32 v[58:59], s[14:15], v[149:150]
	v_add_f64_e64 v[54:55], v[54:55], -v[235:236]
	v_mul_f64_e32 v[56:57], s[14:15], v[183:184]
	v_add_f64_e32 v[52:53], v[237:238], v[52:53]
	v_add_f64_e32 v[40:41], v[40:41], v[60:61]
	;; [unrolled: 1-line block ×3, first 2 shown]
	scratch_load_b64 v[62:63], off, off offset:208 th:TH_LOAD_LU ; 8-byte Folded Reload
	v_mul_f64_e32 v[60:61], s[8:9], v[183:184]
	v_add_f64_e64 v[58:59], v[58:59], -v[231:232]
	v_add_f64_e32 v[56:57], v[233:234], v[56:57]
	v_add_f64_e32 v[40:41], v[40:41], v[64:65]
	;; [unrolled: 1-line block ×3, first 2 shown]
	v_mul_f64_e32 v[64:65], s[54:55], v[157:158]
	s_delay_alu instid0(VALU_DEP_3) | instskip(SKIP_3) | instid1(VALU_DEP_2)
	v_add_f64_e32 v[40:41], v[40:41], v[72:73]
	scratch_load_b64 v[72:73], off, off offset:168 th:TH_LOAD_LU ; 8-byte Folded Reload
	v_add_f64_e32 v[42:43], v[42:43], v[74:75]
	v_add_f64_e32 v[40:41], v[40:41], v[76:77]
	;; [unrolled: 1-line block ×3, first 2 shown]
	s_delay_alu instid0(VALU_DEP_2) | instskip(SKIP_1) | instid1(VALU_DEP_3)
	v_add_f64_e32 v[40:41], v[40:41], v[80:81]
	v_add_f64_e32 v[80:81], v[26:27], v[44:45]
	v_add_f64_e32 v[42:43], v[42:43], v[82:83]
	v_add_f64_e32 v[44:45], v[26:27], v[48:49]
	v_mul_f64_e32 v[48:49], s[8:9], v[96:97]
	v_add_f64_e32 v[82:83], v[24:25], v[46:47]
	v_add_f64_e32 v[46:47], v[24:25], v[50:51]
	v_mul_f64_e32 v[50:51], s[30:31], v[112:113]
	v_add_f64_e32 v[40:41], v[40:41], v[84:85]
	v_add_f64_e32 v[42:43], v[42:43], v[86:87]
	s_delay_alu instid0(VALU_DEP_2) | instskip(NEXT) | instid1(VALU_DEP_2)
	v_add_f64_e32 v[40:41], v[40:41], v[88:89]
	v_add_f64_e32 v[42:43], v[42:43], v[90:91]
	s_delay_alu instid0(VALU_DEP_2) | instskip(SKIP_1) | instid1(VALU_DEP_3)
	v_add_f64_e32 v[40:41], v[40:41], v[68:69]
	v_fma_f64 v[68:69], v[149:150], s[30:31], v[64:65]
	v_add_f64_e32 v[42:43], v[42:43], v[70:71]
	v_mul_f64_e32 v[70:71], s[8:9], v[149:150]
	v_fma_f64 v[64:65], v[149:150], s[30:31], -v[64:65]
	v_add_f64_e32 v[36:37], v[40:41], v[36:37]
	v_mul_f64_e32 v[40:41], s[28:29], v[183:184]
	v_add_f64_e32 v[38:39], v[42:43], v[38:39]
	v_mul_f64_e32 v[42:43], s[28:29], v[149:150]
	v_add_f64_e32 v[68:69], v[24:25], v[68:69]
	v_add_f64_e32 v[64:65], v[24:25], v[64:65]
	s_wait_loadcnt 0x1
	v_add_f64_e32 v[60:61], v[62:63], v[60:61]
	v_mul_f64_e32 v[62:63], s[38:39], v[157:158]
	v_mul_f64_e32 v[157:158], s[20:21], v[171:172]
	v_add_f64_e32 v[32:33], v[36:37], v[32:33]
	v_mul_f64_e32 v[36:37], s[30:31], v[183:184]
	v_add_f64_e32 v[34:35], v[38:39], v[34:35]
	v_add_f64_e64 v[42:43], v[42:43], -v[247:248]
	v_add_f64_e32 v[40:41], v[249:250], v[40:41]
	v_add_f64_e32 v[84:85], v[26:27], v[60:61]
	v_fma_f64 v[66:67], v[149:150], s[36:37], v[62:63]
	v_fma_f64 v[62:63], v[149:150], s[36:37], -v[62:63]
	v_add_f64_e32 v[28:29], v[32:33], v[28:29]
	v_mul_f64_e32 v[32:33], s[36:37], v[183:184]
	v_add_f64_e32 v[30:31], v[34:35], v[30:31]
	v_fma_f64 v[38:39], v[187:188], s[56:57], v[36:37]
	v_add_f64_e32 v[78:79], v[24:25], v[42:43]
	v_add_f64_e32 v[42:43], v[24:25], v[54:55]
	v_fma_f64 v[36:37], v[187:188], s[54:55], v[36:37]
	v_add_f64_e32 v[76:77], v[26:27], v[40:41]
	v_add_f64_e32 v[40:41], v[26:27], v[52:53]
	v_fma_f64 v[52:53], v[118:119], s[56:57], v[50:51]
	v_mul_f64_e32 v[183:184], s[52:53], v[179:180]
	s_wait_loadcnt 0x0
	v_add_f64_e64 v[70:71], v[70:71], -v[72:73]
	v_add_f64_e32 v[66:67], v[24:25], v[66:67]
	v_add_f64_e32 v[62:63], v[24:25], v[62:63]
	v_fma_f64 v[34:35], v[187:188], s[46:47], v[32:33]
	v_fma_f64 v[32:33], v[187:188], s[38:39], v[32:33]
	v_add_f64_e32 v[72:73], v[26:27], v[38:39]
	v_add_f64_e32 v[38:39], v[24:25], v[58:59]
	;; [unrolled: 1-line block ×5, first 2 shown]
	v_fma_f64 v[24:25], v[106:107], s[0:1], v[48:49]
	v_fma_f64 v[48:49], v[106:107], s[42:43], v[48:49]
	v_add_f64_e32 v[34:35], v[26:27], v[34:35]
	v_add_f64_e32 v[32:33], v[26:27], v[32:33]
	s_delay_alu instid0(VALU_DEP_2) | instskip(SKIP_1) | instid1(VALU_DEP_3)
	v_add_f64_e32 v[24:25], v[24:25], v[34:35]
	v_mul_f64_e32 v[34:35], s[42:43], v[104:105]
	v_add_f64_e32 v[32:33], v[48:49], v[32:33]
	v_fma_f64 v[48:49], v[118:119], s[54:55], v[50:51]
	v_fma_f64 v[50:51], v[159:160], s[20:21], -v[183:184]
	v_add_f64_e32 v[24:25], v[52:53], v[24:25]
	v_fma_f64 v[26:27], v[92:93], s[8:9], v[34:35]
	v_mul_f64_e32 v[52:53], s[54:55], v[116:117]
	v_fma_f64 v[34:35], v[92:93], s[8:9], -v[34:35]
	v_add_f64_e32 v[32:33], v[48:49], v[32:33]
	s_delay_alu instid0(VALU_DEP_4) | instskip(NEXT) | instid1(VALU_DEP_4)
	v_add_f64_e32 v[26:27], v[26:27], v[66:67]
	v_fma_f64 v[54:55], v[100:101], s[30:31], v[52:53]
	s_delay_alu instid0(VALU_DEP_4)
	v_add_f64_e32 v[34:35], v[34:35], v[62:63]
	v_fma_f64 v[48:49], v[100:101], s[30:31], -v[52:53]
	scratch_load_b64 v[52:53], off, off offset:320 th:TH_LOAD_LU ; 8-byte Folded Reload
	v_add_f64_e32 v[26:27], v[54:55], v[26:27]
	v_mul_f64_e32 v[54:55], s[14:15], v[127:128]
	v_add_f64_e32 v[34:35], v[48:49], v[34:35]
	s_delay_alu instid0(VALU_DEP_2)
	v_fma_f64 v[56:57], v[131:132], s[10:11], v[54:55]
	v_fma_f64 v[48:49], v[131:132], s[48:49], v[54:55]
	scratch_load_b64 v[54:55], off, off offset:280 th:TH_LOAD_LU ; 8-byte Folded Reload
	v_add_f64_e32 v[24:25], v[56:57], v[24:25]
	v_mul_f64_e32 v[56:57], s[48:49], v[125:126]
	v_add_f64_e32 v[32:33], v[48:49], v[32:33]
	s_delay_alu instid0(VALU_DEP_2)
	v_fma_f64 v[58:59], v[108:109], s[14:15], v[56:57]
	v_fma_f64 v[48:49], v[108:109], s[14:15], -v[56:57]
	scratch_load_b64 v[56:57], off, off offset:248 th:TH_LOAD_LU ; 8-byte Folded Reload
	v_add_f64_e32 v[26:27], v[58:59], v[26:27]
	v_mul_f64_e32 v[58:59], s[28:29], v[139:140]
	v_add_f64_e32 v[34:35], v[48:49], v[34:35]
	s_delay_alu instid0(VALU_DEP_2)
	v_fma_f64 v[60:61], v[147:148], s[50:51], v[58:59]
	v_fma_f64 v[48:49], v[147:148], s[34:35], v[58:59]
	scratch_load_b64 v[58:59], off, off offset:240 th:TH_LOAD_LU ; 8-byte Folded Reload
	v_add_f64_e32 v[24:25], v[60:61], v[24:25]
	v_mul_f64_e32 v[60:61], s[34:35], v[133:134]
	v_add_f64_e32 v[32:33], v[48:49], v[32:33]
	s_delay_alu instid0(VALU_DEP_2)
	v_fma_f64 v[66:67], v[121:122], s[28:29], v[60:61]
	v_fma_f64 v[48:49], v[121:122], s[28:29], -v[60:61]
	s_clause 0x1
	scratch_load_b64 v[60:61], off, off offset:296 th:TH_LOAD_LU
	scratch_load_b64 v[62:63], off, off offset:256 th:TH_LOAD_LU
	v_add_f64_e32 v[26:27], v[66:67], v[26:27]
	v_mul_f64_e32 v[66:67], s[16:17], v[153:154]
	v_add_f64_e32 v[34:35], v[48:49], v[34:35]
	s_delay_alu instid0(VALU_DEP_2)
	v_fma_f64 v[86:87], v[169:170], s[18:19], v[66:67]
	v_fma_f64 v[48:49], v[169:170], s[44:45], v[66:67]
	scratch_load_b64 v[66:67], off, off offset:216 th:TH_LOAD_LU ; 8-byte Folded Reload
	v_add_f64_e32 v[24:25], v[86:87], v[24:25]
	v_mul_f64_e32 v[86:87], s[44:45], v[167:168]
	v_add_f64_e32 v[32:33], v[48:49], v[32:33]
	s_delay_alu instid0(VALU_DEP_2)
	v_fma_f64 v[88:89], v[135:136], s[16:17], v[86:87]
	v_fma_f64 v[48:49], v[135:136], s[16:17], -v[86:87]
	scratch_load_b64 v[86:87], off, off offset:224 th:TH_LOAD_LU ; 8-byte Folded Reload
	v_add_f64_e32 v[26:27], v[88:89], v[26:27]
	v_mul_f64_e32 v[88:89], s[22:23], v[163:164]
	v_add_f64_e32 v[34:35], v[48:49], v[34:35]
	s_delay_alu instid0(VALU_DEP_2) | instskip(SKIP_1) | instid1(VALU_DEP_2)
	v_fma_f64 v[90:91], v[177:178], s[40:41], v[88:89]
	v_fma_f64 v[48:49], v[177:178], s[26:27], v[88:89]
	v_add_f64_e32 v[24:25], v[90:91], v[24:25]
	v_mul_f64_e32 v[90:91], s[26:27], v[175:176]
	s_delay_alu instid0(VALU_DEP_3) | instskip(NEXT) | instid1(VALU_DEP_2)
	v_add_f64_e32 v[32:33], v[48:49], v[32:33]
	v_fma_f64 v[48:49], v[143:144], s[22:23], -v[90:91]
	v_fma_f64 v[149:150], v[143:144], s[22:23], v[90:91]
	s_delay_alu instid0(VALU_DEP_2) | instskip(SKIP_1) | instid1(VALU_DEP_3)
	v_add_f64_e32 v[48:49], v[48:49], v[34:35]
	v_fma_f64 v[34:35], v[181:182], s[52:53], v[157:158]
	v_add_f64_e32 v[149:150], v[149:150], v[26:27]
	v_fma_f64 v[26:27], v[181:182], s[24:25], v[157:158]
	s_delay_alu instid0(VALU_DEP_3)
	v_add_f64_e32 v[34:35], v[34:35], v[32:33]
	v_add_f64_e32 v[32:33], v[50:51], v[48:49]
	scratch_load_b64 v[50:51], off, off offset:360 th:TH_LOAD_LU ; 8-byte Folded Reload
	v_mul_f64_e32 v[48:49], s[22:23], v[153:154]
	v_add_f64_e32 v[26:27], v[26:27], v[24:25]
	v_fma_f64 v[24:25], v[159:160], s[20:21], v[183:184]
	s_delay_alu instid0(VALU_DEP_1) | instskip(SKIP_1) | instid1(VALU_DEP_4)
	v_add_f64_e32 v[24:25], v[24:25], v[149:150]
	s_wait_loadcnt 0x0
	v_add_f64_e32 v[48:49], v[50:51], v[48:49]
	v_mul_f64_e32 v[50:51], s[30:31], v[139:140]
	s_delay_alu instid0(VALU_DEP_1) | instskip(SKIP_1) | instid1(VALU_DEP_1)
	v_add_f64_e32 v[50:51], v[52:53], v[50:51]
	v_mul_f64_e32 v[52:53], s[36:37], v[127:128]
	v_add_f64_e32 v[52:53], v[54:55], v[52:53]
	v_mul_f64_e32 v[54:55], s[28:29], v[112:113]
	s_delay_alu instid0(VALU_DEP_1) | instskip(SKIP_1) | instid1(VALU_DEP_1)
	v_add_f64_e32 v[54:55], v[56:57], v[54:55]
	v_mul_f64_e32 v[56:57], s[20:21], v[96:97]
	v_add_f64_e32 v[56:57], v[58:59], v[56:57]
	v_mul_f64_e32 v[58:59], s[22:23], v[135:136]
	s_delay_alu instid0(VALU_DEP_2) | instskip(NEXT) | instid1(VALU_DEP_2)
	v_add_f64_e32 v[36:37], v[56:57], v[36:37]
	v_add_f64_e64 v[58:59], v[58:59], -v[60:61]
	v_mul_f64_e32 v[60:61], s[30:31], v[121:122]
	v_mul_f64_e32 v[56:57], s[36:37], v[108:109]
	s_delay_alu instid0(VALU_DEP_4) | instskip(SKIP_1) | instid1(VALU_DEP_4)
	v_add_f64_e32 v[36:37], v[54:55], v[36:37]
	v_mul_f64_e32 v[54:55], s[16:17], v[163:164]
	v_add_f64_e64 v[60:61], v[60:61], -v[62:63]
	v_mul_f64_e32 v[62:63], s[20:21], v[92:93]
	s_delay_alu instid0(VALU_DEP_4) | instskip(SKIP_1) | instid1(VALU_DEP_3)
	v_add_f64_e32 v[36:37], v[52:53], v[36:37]
	v_mul_f64_e32 v[52:53], s[16:17], v[143:144]
	v_add_f64_e64 v[62:63], v[62:63], -v[66:67]
	v_mul_f64_e32 v[66:67], s[28:29], v[100:101]
	s_delay_alu instid0(VALU_DEP_4) | instskip(SKIP_1) | instid1(VALU_DEP_4)
	v_add_f64_e32 v[36:37], v[50:51], v[36:37]
	v_mul_f64_e32 v[50:51], s[8:9], v[171:172]
	v_add_f64_e32 v[38:39], v[62:63], v[38:39]
	scratch_load_b64 v[62:63], off, off offset:232 th:TH_LOAD_LU ; 8-byte Folded Reload
	v_add_f64_e64 v[66:67], v[66:67], -v[86:87]
	scratch_load_b64 v[86:87], off, off offset:304 th:TH_LOAD_LU ; 8-byte Folded Reload
	v_add_f64_e32 v[36:37], v[48:49], v[36:37]
	v_mul_f64_e32 v[48:49], s[8:9], v[159:160]
	v_add_f64_e32 v[38:39], v[66:67], v[38:39]
	scratch_load_b64 v[66:67], off, off offset:272 th:TH_LOAD_LU ; 8-byte Folded Reload
	s_wait_loadcnt 0x2
	v_add_f64_e64 v[56:57], v[56:57], -v[62:63]
	scratch_load_b64 v[62:63], off, off offset:328 th:TH_LOAD_LU ; 8-byte Folded Reload
	v_add_f64_e32 v[38:39], v[56:57], v[38:39]
	scratch_load_b64 v[56:57], off, off offset:264 th:TH_LOAD_LU ; 8-byte Folded Reload
	v_add_f64_e32 v[38:39], v[60:61], v[38:39]
	v_mul_f64_e32 v[60:61], s[14:15], v[121:122]
	s_delay_alu instid0(VALU_DEP_2)
	v_add_f64_e32 v[38:39], v[58:59], v[38:39]
	scratch_load_b64 v[58:59], off, off offset:336 th:TH_LOAD_LU ; 8-byte Folded Reload
	s_wait_loadcnt 0x2
	v_add_f64_e32 v[54:55], v[62:63], v[54:55]
	scratch_load_b64 v[62:63], off, off offset:416 th:TH_LOAD_LU ; 8-byte Folded Reload
	s_wait_loadcnt 0x2
	v_add_f64_e64 v[52:53], v[52:53], -v[56:57]
	scratch_load_b64 v[56:57], off, off offset:352 th:TH_LOAD_LU ; 8-byte Folded Reload
	v_add_f64_e32 v[36:37], v[54:55], v[36:37]
	scratch_load_b64 v[54:55], off, off offset:432 th:TH_LOAD_LU ; 8-byte Folded Reload
	v_add_f64_e32 v[52:53], v[52:53], v[38:39]
	s_wait_loadcnt 0x2
	v_add_f64_e64 v[60:61], v[60:61], -v[62:63]
	v_mul_f64_e32 v[62:63], s[28:29], v[92:93]
	s_delay_alu instid0(VALU_DEP_1) | instskip(SKIP_1) | instid1(VALU_DEP_2)
	v_add_f64_e64 v[62:63], v[62:63], -v[66:67]
	v_mul_f64_e32 v[66:67], s[36:37], v[100:101]
	v_add_f64_e32 v[42:43], v[62:63], v[42:43]
	s_delay_alu instid0(VALU_DEP_2)
	v_add_f64_e64 v[66:67], v[66:67], -v[86:87]
	scratch_load_b64 v[86:87], off, off offset:376 th:TH_LOAD_LU ; 8-byte Folded Reload
	s_wait_loadcnt 0x2
	v_add_f64_e32 v[50:51], v[56:57], v[50:51]
	scratch_load_b64 v[56:57], off, off offset:288 th:TH_LOAD_LU ; 8-byte Folded Reload
	v_add_f64_e32 v[42:43], v[66:67], v[42:43]
	s_clause 0x1
	scratch_load_b64 v[66:67], off, off offset:344 th:TH_LOAD_LU
	scratch_load_b64 v[62:63], off, off offset:312 th:TH_LOAD_LU
	v_add_f64_e32 v[38:39], v[50:51], v[36:37]
	v_mul_f64_e32 v[50:51], s[14:15], v[139:140]
	s_delay_alu instid0(VALU_DEP_1)
	v_add_f64_e32 v[50:51], v[137:138], v[50:51]
	s_wait_loadcnt 0x2
	v_add_f64_e64 v[48:49], v[48:49], -v[56:57]
	scratch_load_b64 v[56:57], off, off offset:368 th:TH_LOAD_LU ; 8-byte Folded Reload
	v_add_f64_e32 v[36:37], v[48:49], v[52:53]
	v_mul_f64_e32 v[52:53], s[22:23], v[127:128]
	v_mul_f64_e32 v[48:49], s[8:9], v[153:154]
	s_delay_alu instid0(VALU_DEP_2) | instskip(SKIP_1) | instid1(VALU_DEP_3)
	v_add_f64_e32 v[52:53], v[54:55], v[52:53]
	v_mul_f64_e32 v[54:55], s[36:37], v[112:113]
	v_add_f64_e32 v[48:49], v[197:198], v[48:49]
	s_wait_loadcnt 0x0
	s_delay_alu instid0(VALU_DEP_2) | instskip(SKIP_1) | instid1(VALU_DEP_1)
	v_add_f64_e32 v[54:55], v[56:57], v[54:55]
	v_mul_f64_e32 v[56:57], s[28:29], v[96:97]
	v_add_f64_e32 v[56:57], v[58:59], v[56:57]
	v_mul_f64_e32 v[58:59], s[8:9], v[135:136]
	s_delay_alu instid0(VALU_DEP_2) | instskip(SKIP_1) | instid1(VALU_DEP_3)
	v_add_f64_e32 v[40:41], v[56:57], v[40:41]
	v_mul_f64_e32 v[56:57], s[22:23], v[108:109]
	v_add_f64_e64 v[58:59], v[58:59], -v[114:115]
	s_delay_alu instid0(VALU_DEP_3) | instskip(NEXT) | instid1(VALU_DEP_3)
	v_add_f64_e32 v[40:41], v[54:55], v[40:41]
	v_add_f64_e64 v[56:57], v[56:57], -v[62:63]
	v_mul_f64_e32 v[62:63], s[36:37], v[92:93]
	v_mul_f64_e32 v[54:55], s[20:21], v[163:164]
	s_delay_alu instid0(VALU_DEP_4) | instskip(NEXT) | instid1(VALU_DEP_4)
	v_add_f64_e32 v[40:41], v[52:53], v[40:41]
	v_add_f64_e32 v[42:43], v[56:57], v[42:43]
	scratch_load_b64 v[56:57], off, off offset:424 th:TH_LOAD_LU ; 8-byte Folded Reload
	v_mul_f64_e32 v[52:53], s[20:21], v[143:144]
	v_add_f64_e64 v[62:63], v[62:63], -v[66:67]
	v_mul_f64_e32 v[66:67], s[22:23], v[100:101]
	v_add_f64_e32 v[54:55], v[253:254], v[54:55]
	v_add_f64_e32 v[40:41], v[50:51], v[40:41]
	v_mul_f64_e32 v[50:51], s[30:31], v[171:172]
	v_add_f64_e32 v[42:43], v[60:61], v[42:43]
	v_mul_f64_e32 v[60:61], s[16:17], v[121:122]
	v_add_f64_e32 v[46:47], v[62:63], v[46:47]
	v_add_f64_e64 v[66:67], v[66:67], -v[86:87]
	scratch_load_b64 v[86:87], off, off offset:440 th:TH_LOAD_LU ; 8-byte Folded Reload
	v_add_f64_e32 v[40:41], v[48:49], v[40:41]
	v_mul_f64_e32 v[48:49], s[30:31], v[159:160]
	v_add_f64_e32 v[42:43], v[58:59], v[42:43]
	v_add_f64_e64 v[60:61], v[60:61], -v[123:124]
	s_clause 0x1
	scratch_load_b64 v[58:59], off, off offset:408 th:TH_LOAD_LU
	scratch_load_b64 v[62:63], off, off offset:392 th:TH_LOAD_LU
	v_add_f64_e32 v[46:47], v[66:67], v[46:47]
	scratch_load_b64 v[66:67], off, off offset:384 th:TH_LOAD_LU ; 8-byte Folded Reload
	v_add_f64_e32 v[40:41], v[54:55], v[40:41]
	v_mul_f64_e32 v[54:55], s[22:23], v[112:113]
	s_delay_alu instid0(VALU_DEP_1)
	v_add_f64_e32 v[54:55], v[98:99], v[54:55]
	v_mul_f64_e32 v[98:99], s[26:27], v[179:180]
	s_wait_loadcnt 0x4
	v_add_f64_e64 v[52:53], v[52:53], -v[56:57]
	scratch_load_b64 v[56:57], off, off offset:464 th:TH_LOAD_LU ; 8-byte Folded Reload
	v_add_f64_e32 v[52:53], v[52:53], v[42:43]
	s_wait_loadcnt 0x0
	v_add_f64_e32 v[50:51], v[56:57], v[50:51]
	scratch_load_b64 v[56:57], off, off offset:400 th:TH_LOAD_LU ; 8-byte Folded Reload
	v_add_f64_e32 v[42:43], v[50:51], v[40:41]
	v_mul_f64_e32 v[50:51], s[16:17], v[139:140]
	s_delay_alu instid0(VALU_DEP_1) | instskip(SKIP_3) | instid1(VALU_DEP_2)
	v_add_f64_e32 v[50:51], v[195:196], v[50:51]
	s_wait_loadcnt 0x0
	v_add_f64_e64 v[48:49], v[48:49], -v[56:57]
	v_mul_f64_e32 v[56:57], s[36:37], v[96:97]
	v_add_f64_e32 v[40:41], v[48:49], v[52:53]
	s_delay_alu instid0(VALU_DEP_2) | instskip(SKIP_3) | instid1(VALU_DEP_4)
	v_add_f64_e32 v[56:57], v[58:59], v[56:57]
	v_mul_f64_e32 v[52:53], s[8:9], v[127:128]
	v_mul_f64_e32 v[48:49], s[30:31], v[153:154]
	;; [unrolled: 1-line block ×3, first 2 shown]
	v_add_f64_e32 v[44:45], v[56:57], v[44:45]
	v_mul_f64_e32 v[56:57], s[8:9], v[108:109]
	v_add_f64_e32 v[52:53], v[151:152], v[52:53]
	v_add_f64_e32 v[48:49], v[215:216], v[48:49]
	v_add_f64_e64 v[58:59], v[58:59], -v[189:190]
	v_add_f64_e32 v[44:45], v[54:55], v[44:45]
	v_add_f64_e64 v[56:57], v[56:57], -v[62:63]
	v_mul_f64_e32 v[62:63], s[30:31], v[92:93]
	v_mul_f64_e32 v[54:55], s[28:29], v[163:164]
	s_delay_alu instid0(VALU_DEP_4) | instskip(NEXT) | instid1(VALU_DEP_4)
	v_add_f64_e32 v[44:45], v[52:53], v[44:45]
	v_add_f64_e32 v[46:47], v[56:57], v[46:47]
	s_delay_alu instid0(VALU_DEP_4)
	v_add_f64_e64 v[62:63], v[62:63], -v[66:67]
	v_mul_f64_e32 v[56:57], s[30:31], v[96:97]
	v_mul_f64_e32 v[52:53], s[28:29], v[143:144]
	v_add_f64_e32 v[54:55], v[155:156], v[54:55]
	v_mul_f64_e32 v[66:67], s[14:15], v[100:101]
	v_add_f64_e32 v[44:45], v[50:51], v[44:45]
	v_add_f64_e32 v[46:47], v[60:61], v[46:47]
	;; [unrolled: 1-line block ×3, first 2 shown]
	scratch_load_b64 v[82:83], off, off offset:456 th:TH_LOAD_LU ; 8-byte Folded Reload
	v_add_f64_e32 v[56:57], v[102:103], v[56:57]
	v_add_f64_e64 v[52:53], v[52:53], -v[110:111]
	v_mul_f64_e32 v[50:51], s[14:15], v[171:172]
	v_add_f64_e64 v[66:67], v[66:67], -v[86:87]
	v_mul_f64_e32 v[60:61], s[36:37], v[121:122]
	v_mul_f64_e32 v[102:103], s[22:23], v[171:172]
	v_add_f64_e32 v[44:45], v[48:49], v[44:45]
	v_add_f64_e32 v[46:47], v[58:59], v[46:47]
	v_mul_f64_e32 v[48:49], s[14:15], v[159:160]
	v_mul_f64_e32 v[58:59], s[20:21], v[135:136]
	v_add_f64_e32 v[56:57], v[56:57], v[80:81]
	v_mul_f64_e32 v[80:81], s[16:17], v[108:109]
	v_add_f64_e32 v[50:51], v[145:146], v[50:51]
	v_add_f64_e64 v[60:61], v[60:61], -v[191:192]
	v_add_f64_e32 v[44:45], v[54:55], v[44:45]
	v_add_f64_e32 v[52:53], v[52:53], v[46:47]
	v_add_f64_e64 v[48:49], v[48:49], -v[94:95]
	v_mul_f64_e32 v[54:55], s[14:15], v[112:113]
	v_add_f64_e64 v[58:59], v[58:59], -v[211:212]
	v_add_f64_e32 v[46:47], v[50:51], v[44:45]
	v_mul_f64_e32 v[50:51], s[36:37], v[139:140]
	v_add_f64_e32 v[44:45], v[48:49], v[52:53]
	v_mul_f64_e32 v[52:53], s[16:17], v[127:128]
	;; [unrolled: 2-line block ×3, first 2 shown]
	v_add_f64_e32 v[50:51], v[219:220], v[50:51]
	s_delay_alu instid0(VALU_DEP_4) | instskip(NEXT) | instid1(VALU_DEP_4)
	v_add_f64_e32 v[52:53], v[201:202], v[52:53]
	v_add_f64_e32 v[54:55], v[54:55], v[56:57]
	;; [unrolled: 1-line block ×4, first 2 shown]
	v_mul_f64_e32 v[62:63], s[8:9], v[163:164]
	v_mul_f64_e32 v[66:67], s[20:21], v[121:122]
	v_add_f64_e32 v[52:53], v[52:53], v[54:55]
	s_delay_alu instid0(VALU_DEP_3) | instskip(NEXT) | instid1(VALU_DEP_3)
	v_add_f64_e32 v[62:63], v[203:204], v[62:63]
	v_add_f64_e64 v[66:67], v[66:67], -v[209:210]
	s_delay_alu instid0(VALU_DEP_3) | instskip(NEXT) | instid1(VALU_DEP_1)
	v_add_f64_e32 v[50:51], v[50:51], v[52:53]
	v_add_f64_e32 v[48:49], v[48:49], v[50:51]
	s_delay_alu instid0(VALU_DEP_1)
	v_add_f64_e32 v[48:49], v[62:63], v[48:49]
	v_mul_f64_e32 v[62:63], s[14:15], v[135:136]
	s_wait_loadcnt 0x0
	v_add_f64_e64 v[80:81], v[80:81], -v[82:83]
	scratch_load_b64 v[82:83], off, off offset:448 th:TH_LOAD_LU ; 8-byte Folded Reload
	v_add_f64_e64 v[62:63], v[62:63], -v[223:224]
	v_add_f64_e32 v[54:55], v[80:81], v[56:57]
	v_mul_f64_e32 v[56:57], s[8:9], v[143:144]
	v_mul_f64_e32 v[80:81], s[22:23], v[92:93]
	s_delay_alu instid0(VALU_DEP_3) | instskip(NEXT) | instid1(VALU_DEP_3)
	v_add_f64_e32 v[52:53], v[60:61], v[54:55]
	v_add_f64_e64 v[56:57], v[56:57], -v[185:186]
	v_mul_f64_e32 v[54:55], s[28:29], v[171:172]
	v_mul_f64_e32 v[60:61], s[22:23], v[96:97]
	s_delay_alu instid0(VALU_DEP_4) | instskip(SKIP_1) | instid1(VALU_DEP_4)
	v_add_f64_e32 v[50:51], v[58:59], v[52:53]
	v_mul_f64_e32 v[52:53], s[28:29], v[159:160]
	v_add_f64_e32 v[54:55], v[199:200], v[54:55]
	v_mul_f64_e32 v[58:59], s[8:9], v[112:113]
	v_add_f64_e32 v[60:61], v[173:174], v[60:61]
	v_add_f64_e32 v[56:57], v[56:57], v[50:51]
	v_add_f64_e64 v[52:53], v[52:53], -v[161:162]
	v_add_f64_e32 v[50:51], v[54:55], v[48:49]
	v_add_f64_e32 v[58:59], v[207:208], v[58:59]
	;; [unrolled: 1-line block ×3, first 2 shown]
	v_mul_f64_e32 v[54:55], s[20:21], v[139:140]
	v_add_f64_e32 v[48:49], v[52:53], v[56:57]
	v_mul_f64_e32 v[56:57], s[30:31], v[127:128]
	v_mul_f64_e32 v[52:53], s[14:15], v[153:154]
	v_add_f64_e32 v[58:59], v[58:59], v[60:61]
	v_add_f64_e32 v[54:55], v[225:226], v[54:55]
	s_delay_alu instid0(VALU_DEP_4) | instskip(NEXT) | instid1(VALU_DEP_4)
	v_add_f64_e32 v[56:57], v[221:222], v[56:57]
	v_add_f64_e32 v[52:53], v[229:230], v[52:53]
	s_delay_alu instid0(VALU_DEP_2) | instskip(NEXT) | instid1(VALU_DEP_1)
	v_add_f64_e32 v[56:57], v[56:57], v[58:59]
	v_add_f64_e32 v[54:55], v[54:55], v[56:57]
	s_wait_loadcnt 0x0
	v_add_f64_e64 v[80:81], v[80:81], -v[82:83]
	v_mul_f64_e32 v[82:83], s[8:9], v[100:101]
	s_delay_alu instid0(VALU_DEP_3) | instskip(NEXT) | instid1(VALU_DEP_3)
	v_add_f64_e32 v[52:53], v[52:53], v[54:55]
	v_add_f64_e32 v[76:77], v[80:81], v[78:79]
	s_delay_alu instid0(VALU_DEP_3) | instskip(SKIP_1) | instid1(VALU_DEP_2)
	v_add_f64_e64 v[82:83], v[82:83], -v[129:130]
	v_mul_f64_e32 v[78:79], s[30:31], v[108:109]
	v_add_f64_e32 v[60:61], v[82:83], v[76:77]
	s_delay_alu instid0(VALU_DEP_2) | instskip(SKIP_1) | instid1(VALU_DEP_2)
	v_add_f64_e64 v[78:79], v[78:79], -v[141:142]
	v_mul_f64_e32 v[76:77], s[36:37], v[163:164]
	v_add_f64_e32 v[58:59], v[78:79], v[60:61]
	v_mul_f64_e32 v[60:61], s[36:37], v[143:144]
	s_delay_alu instid0(VALU_DEP_3) | instskip(NEXT) | instid1(VALU_DEP_3)
	v_add_f64_e32 v[76:77], v[217:218], v[76:77]
	v_add_f64_e32 v[56:57], v[66:67], v[58:59]
	s_delay_alu instid0(VALU_DEP_3) | instskip(SKIP_1) | instid1(VALU_DEP_4)
	v_add_f64_e64 v[60:61], v[60:61], -v[205:206]
	v_mul_f64_e32 v[58:59], s[16:17], v[171:172]
	v_add_f64_e32 v[52:53], v[76:77], v[52:53]
	s_delay_alu instid0(VALU_DEP_4) | instskip(SKIP_1) | instid1(VALU_DEP_4)
	v_add_f64_e32 v[54:55], v[62:63], v[56:57]
	v_mul_f64_e32 v[56:57], s[16:17], v[159:160]
	v_add_f64_e32 v[58:59], v[213:214], v[58:59]
	v_mul_f64_e32 v[62:63], s[44:45], v[104:105]
	s_delay_alu instid0(VALU_DEP_4) | instskip(NEXT) | instid1(VALU_DEP_4)
	v_add_f64_e32 v[60:61], v[60:61], v[54:55]
	v_add_f64_e64 v[56:57], v[56:57], -v[193:194]
	s_delay_alu instid0(VALU_DEP_4) | instskip(NEXT) | instid1(VALU_DEP_4)
	v_add_f64_e32 v[54:55], v[58:59], v[52:53]
	v_fma_f64 v[58:59], v[92:93], s[16:17], -v[62:63]
	v_fma_f64 v[62:63], v[92:93], s[16:17], v[62:63]
	s_delay_alu instid0(VALU_DEP_4) | instskip(SKIP_1) | instid1(VALU_DEP_4)
	v_add_f64_e32 v[52:53], v[56:57], v[60:61]
	v_mul_f64_e32 v[60:61], s[16:17], v[96:97]
	v_add_f64_e32 v[58:59], v[58:59], v[64:65]
	v_mul_f64_e32 v[64:65], s[20:21], v[112:113]
	v_add_f64_e32 v[62:63], v[62:63], v[68:69]
	scratch_load_b64 v[68:69], off, off offset:144 th:TH_LOAD_LU ; 8-byte Folded Reload
	v_fma_f64 v[56:57], v[106:107], s[44:45], v[60:61]
	v_fma_f64 v[60:61], v[106:107], s[18:19], v[60:61]
	;; [unrolled: 1-line block ×4, first 2 shown]
	s_delay_alu instid0(VALU_DEP_4) | instskip(NEXT) | instid1(VALU_DEP_4)
	v_add_f64_e32 v[56:57], v[56:57], v[74:75]
	v_add_f64_e32 v[60:61], v[60:61], v[72:73]
	scratch_load_b64 v[72:73], off, off offset:108 th:TH_LOAD_LU ; 8-byte Folded Reload
	v_add_f64_e32 v[56:57], v[66:67], v[56:57]
	v_mul_f64_e32 v[66:67], s[24:25], v[116:117]
	v_add_f64_e32 v[60:61], v[64:65], v[60:61]
	s_delay_alu instid0(VALU_DEP_2) | instskip(SKIP_2) | instid1(VALU_DEP_3)
	v_fma_f64 v[74:75], v[100:101], s[20:21], -v[66:67]
	v_fma_f64 v[64:65], v[100:101], s[20:21], v[66:67]
	v_fma_f64 v[66:67], v[159:160], s[22:23], v[98:99]
	v_add_f64_e32 v[58:59], v[74:75], v[58:59]
	v_mul_f64_e32 v[74:75], s[28:29], v[127:128]
	s_delay_alu instid0(VALU_DEP_4) | instskip(NEXT) | instid1(VALU_DEP_2)
	v_add_f64_e32 v[62:63], v[64:65], v[62:63]
	v_fma_f64 v[76:77], v[131:132], s[50:51], v[74:75]
	v_fma_f64 v[74:75], v[131:132], s[34:35], v[74:75]
	s_delay_alu instid0(VALU_DEP_2) | instskip(SKIP_1) | instid1(VALU_DEP_3)
	v_add_f64_e32 v[56:57], v[76:77], v[56:57]
	v_mul_f64_e32 v[76:77], s[50:51], v[125:126]
	v_add_f64_e32 v[60:61], v[74:75], v[60:61]
	scratch_load_b64 v[74:75], off, off offset:76 th:TH_LOAD_LU ; 8-byte Folded Reload
	v_fma_f64 v[78:79], v[108:109], s[28:29], -v[76:77]
	v_fma_f64 v[64:65], v[108:109], s[28:29], v[76:77]
	scratch_load_b64 v[76:77], off, off offset:28 th:TH_LOAD_LU ; 8-byte Folded Reload
	v_add_f64_e32 v[58:59], v[78:79], v[58:59]
	v_mul_f64_e32 v[78:79], s[8:9], v[139:140]
	v_add_f64_e32 v[62:63], v[64:65], v[62:63]
	s_delay_alu instid0(VALU_DEP_2) | instskip(SKIP_1) | instid1(VALU_DEP_2)
	v_fma_f64 v[80:81], v[147:148], s[0:1], v[78:79]
	v_fma_f64 v[78:79], v[147:148], s[42:43], v[78:79]
	v_add_f64_e32 v[56:57], v[80:81], v[56:57]
	v_mul_f64_e32 v[80:81], s[0:1], v[133:134]
	s_delay_alu instid0(VALU_DEP_3) | instskip(SKIP_3) | instid1(VALU_DEP_2)
	v_add_f64_e32 v[60:61], v[78:79], v[60:61]
	scratch_load_b64 v[78:79], off, off offset:128 th:TH_LOAD_LU ; 8-byte Folded Reload
	v_fma_f64 v[82:83], v[121:122], s[8:9], -v[80:81]
	v_fma_f64 v[64:65], v[121:122], s[8:9], v[80:81]
	v_add_f64_e32 v[58:59], v[82:83], v[58:59]
	v_mul_f64_e32 v[82:83], s[36:37], v[153:154]
	s_delay_alu instid0(VALU_DEP_3) | instskip(NEXT) | instid1(VALU_DEP_2)
	v_add_f64_e32 v[62:63], v[64:65], v[62:63]
	v_fma_f64 v[86:87], v[169:170], s[38:39], v[82:83]
	v_fma_f64 v[82:83], v[169:170], s[46:47], v[82:83]
	s_delay_alu instid0(VALU_DEP_2) | instskip(SKIP_1) | instid1(VALU_DEP_3)
	v_add_f64_e32 v[56:57], v[86:87], v[56:57]
	v_mul_f64_e32 v[86:87], s[38:39], v[167:168]
	v_add_f64_e32 v[60:61], v[82:83], v[60:61]
	scratch_load_b64 v[82:83], off, off offset:44 th:TH_LOAD_LU ; 8-byte Folded Reload
	v_fma_f64 v[88:89], v[135:136], s[36:37], -v[86:87]
	v_fma_f64 v[64:65], v[135:136], s[36:37], v[86:87]
	s_clause 0x1
	scratch_load_b64 v[86:87], off, off offset:60 th:TH_LOAD_LU
	scratch_load_b64 v[80:81], off, off offset:12 th:TH_LOAD_LU
	v_add_f64_e32 v[58:59], v[88:89], v[58:59]
	v_mul_f64_e32 v[88:89], s[14:15], v[163:164]
	v_add_f64_e32 v[62:63], v[64:65], v[62:63]
	s_delay_alu instid0(VALU_DEP_2) | instskip(SKIP_1) | instid1(VALU_DEP_2)
	v_fma_f64 v[90:91], v[177:178], s[48:49], v[88:89]
	v_fma_f64 v[88:89], v[177:178], s[10:11], v[88:89]
	v_add_f64_e32 v[56:57], v[90:91], v[56:57]
	v_mul_f64_e32 v[90:91], s[48:49], v[175:176]
	s_delay_alu instid0(VALU_DEP_3) | instskip(NEXT) | instid1(VALU_DEP_2)
	v_add_f64_e32 v[60:61], v[88:89], v[60:61]
	v_fma_f64 v[94:95], v[143:144], s[14:15], -v[90:91]
	v_fma_f64 v[64:65], v[143:144], s[14:15], v[90:91]
	s_delay_alu instid0(VALU_DEP_2) | instskip(SKIP_1) | instid1(VALU_DEP_3)
	v_add_f64_e32 v[94:95], v[94:95], v[58:59]
	v_fma_f64 v[58:59], v[181:182], s[26:27], v[102:103]
	v_add_f64_e32 v[64:65], v[64:65], v[62:63]
	s_delay_alu instid0(VALU_DEP_2) | instskip(SKIP_1) | instid1(VALU_DEP_1)
	v_add_f64_e32 v[58:59], v[58:59], v[56:57]
	v_fma_f64 v[56:57], v[159:160], s[22:23], -v[98:99]
	v_add_f64_e32 v[56:57], v[56:57], v[94:95]
	v_fma_f64 v[94:95], v[181:182], s[40:41], v[102:103]
	s_delay_alu instid0(VALU_DEP_1) | instskip(SKIP_4) | instid1(VALU_DEP_1)
	v_add_f64_e32 v[62:63], v[94:95], v[60:61]
	v_add_f64_e32 v[60:61], v[66:67], v[64:65]
	scratch_load_b64 v[66:67], off, off offset:176 th:TH_LOAD_LU ; 8-byte Folded Reload
	v_mul_f64_e32 v[64:65], s[28:29], v[153:154]
	s_wait_loadcnt 0x0
	v_add_f64_e32 v[64:65], v[66:67], v[64:65]
	v_mul_f64_e32 v[66:67], s[22:23], v[139:140]
	s_delay_alu instid0(VALU_DEP_1) | instskip(SKIP_1) | instid1(VALU_DEP_1)
	v_add_f64_e32 v[66:67], v[68:69], v[66:67]
	v_mul_f64_e32 v[68:69], s[20:21], v[127:128]
	v_add_f64_e32 v[68:69], v[72:73], v[68:69]
	v_mul_f64_e32 v[72:73], s[16:17], v[112:113]
	s_delay_alu instid0(VALU_DEP_1) | instskip(SKIP_1) | instid1(VALU_DEP_1)
	v_add_f64_e32 v[72:73], v[74:75], v[72:73]
	v_mul_f64_e32 v[74:75], s[14:15], v[96:97]
	v_add_f64_e32 v[74:75], v[76:77], v[74:75]
	v_mul_f64_e32 v[76:77], s[28:29], v[135:136]
	s_delay_alu instid0(VALU_DEP_2)
	v_add_f64_e32 v[74:75], v[74:75], v[84:85]
	scratch_load_b64 v[84:85], off, off offset:92 th:TH_LOAD_LU ; 8-byte Folded Reload
	v_add_f64_e64 v[76:77], v[76:77], -v[78:79]
	v_mul_f64_e32 v[78:79], s[14:15], v[92:93]
	v_add_f64_e32 v[72:73], v[72:73], v[74:75]
	v_mul_f64_e32 v[74:75], s[30:31], v[163:164]
	s_delay_alu instid0(VALU_DEP_3) | instskip(SKIP_1) | instid1(VALU_DEP_4)
	v_add_f64_e64 v[78:79], v[78:79], -v[80:81]
	v_mul_f64_e32 v[80:81], s[16:17], v[100:101]
	v_add_f64_e32 v[68:69], v[68:69], v[72:73]
	v_mul_f64_e32 v[72:73], s[30:31], v[143:144]
	s_delay_alu instid0(VALU_DEP_4) | instskip(NEXT) | instid1(VALU_DEP_4)
	v_add_f64_e32 v[70:71], v[78:79], v[70:71]
	v_add_f64_e64 v[80:81], v[80:81], -v[82:83]
	v_mul_f64_e32 v[82:83], s[20:21], v[108:109]
	v_mul_f64_e32 v[78:79], s[22:23], v[121:122]
	v_add_f64_e32 v[66:67], v[66:67], v[68:69]
	s_delay_alu instid0(VALU_DEP_4) | instskip(SKIP_3) | instid1(VALU_DEP_2)
	v_add_f64_e32 v[70:71], v[80:81], v[70:71]
	scratch_load_b64 v[80:81], off, off offset:192 th:TH_LOAD_LU ; 8-byte Folded Reload
	v_add_f64_e64 v[82:83], v[82:83], -v[86:87]
	v_add_f64_e32 v[64:65], v[64:65], v[66:67]
	v_add_f64_e32 v[70:71], v[82:83], v[70:71]
	s_wait_loadcnt 0x1
	v_add_f64_e64 v[78:79], v[78:79], -v[84:85]
	s_delay_alu instid0(VALU_DEP_1)
	v_add_f64_e32 v[68:69], v[78:79], v[70:71]
	scratch_load_b64 v[78:79], off, off offset:200 th:TH_LOAD_LU ; 8-byte Folded Reload
	v_mul_f64_e32 v[70:71], s[36:37], v[171:172]
	v_add_f64_e32 v[66:67], v[76:77], v[68:69]
	scratch_load_b64 v[76:77], off, off offset:184 th:TH_LOAD_LU ; 8-byte Folded Reload
	v_mul_f64_e32 v[68:69], s[36:37], v[159:160]
	s_wait_loadcnt 0x2
	v_add_f64_e32 v[74:75], v[80:81], v[74:75]
	scratch_load_b64 v[80:81], off, off offset:160 th:TH_LOAD_LU ; 8-byte Folded Reload
	v_add_f64_e32 v[64:65], v[74:75], v[64:65]
	s_wait_loadcnt 0x2
	v_add_f64_e32 v[70:71], v[78:79], v[70:71]
	s_wait_loadcnt 0x1
	v_add_f64_e64 v[68:69], v[68:69], -v[76:77]
	s_wait_loadcnt 0x0
	v_add_f64_e64 v[72:73], v[72:73], -v[80:81]
	s_delay_alu instid0(VALU_DEP_1) | instskip(NEXT) | instid1(VALU_DEP_4)
	v_add_f64_e32 v[72:73], v[72:73], v[66:67]
	v_add_f64_e32 v[66:67], v[70:71], v[64:65]
	s_delay_alu instid0(VALU_DEP_2) | instskip(SKIP_3) | instid1(VALU_DEP_1)
	v_add_f64_e32 v[64:65], v[68:69], v[72:73]
	scratch_load_b32 v68, off, off          ; 4-byte Folded Reload
	s_wait_loadcnt 0x0
	v_mul_lo_u16 v68, v68, 17
	v_and_b32_e32 v68, 0xffff, v68
	s_delay_alu instid0(VALU_DEP_1)
	v_add_lshl_u32 v68, v255, v68, 4
	ds_store_b128 v68, v[36:39] offset:32
	ds_store_b128 v68, v[40:43] offset:48
	;; [unrolled: 1-line block ×15, first 2 shown]
	ds_store_b128 v68, v[28:31]
	ds_store_b128 v68, v[0:3] offset:256
.LBB0_7:
	s_or_b32 exec_lo, exec_lo, s33
	scratch_load_b32 v25, off, off          ; 4-byte Folded Reload
	s_load_b128 s[0:3], s[2:3], 0x0
	global_wb scope:SCOPE_SE
	s_wait_loadcnt_dscnt 0x0
	s_wait_kmcnt 0x0
	s_barrier_signal -1
	s_barrier_wait -1
	global_inv scope:SCOPE_SE
	s_mov_b32 s24, 0xf8bb580b
	s_mov_b32 s18, 0x43842ef
	;; [unrolled: 1-line block ×19, first 2 shown]
	s_wait_alu 0xfffe
	s_mov_b32 s28, s26
	s_mov_b32 s31, 0x3fefac9e
	s_mov_b32 s30, s18
	s_mov_b32 s35, 0x3fe14ced
	s_mov_b32 s34, s24
	v_mul_u32_u24_e32 v24, 10, v25
	v_add_lshl_u32 v255, v255, v25, 4
	s_delay_alu instid0(VALU_DEP_2)
	v_lshlrev_b32_e32 v56, 4, v24
	s_clause 0x3
	global_load_b128 v[32:35], v56, s[6:7]
	global_load_b128 v[247:250], v56, s[6:7] offset:144
	global_load_b128 v[26:29], v56, s[6:7] offset:16
	;; [unrolled: 1-line block ×3, first 2 shown]
	ds_load_b128 v[40:43], v255 offset:272
	ds_load_b128 v[44:47], v255 offset:2720
	ds_load_b128 v[64:67], v255
	ds_load_b128 v[48:51], v255 offset:544
	s_wait_loadcnt_dscnt 0x303
	v_mul_f64_e32 v[52:53], v[42:43], v[34:35]
	v_mul_f64_e32 v[54:55], v[40:41], v[34:35]
	s_wait_loadcnt_dscnt 0x202
	v_mul_f64_e32 v[57:58], v[44:45], v[249:250]
	v_mul_f64_e32 v[59:60], v[46:47], v[249:250]
	s_wait_loadcnt 0x1
	scratch_store_b128 off, v[26:29], off offset:12 ; 16-byte Folded Spill
	v_fma_f64 v[76:77], v[40:41], v[32:33], -v[52:53]
	v_fma_f64 v[78:79], v[42:43], v[32:33], v[54:55]
	ds_load_b128 v[52:55], v255 offset:816
	s_wait_dscnt 0x1
	v_mul_f64_e32 v[40:41], v[50:51], v[28:29]
	v_mul_f64_e32 v[42:43], v[48:49], v[28:29]
	v_fma_f64 v[108:109], v[46:47], v[247:248], v[57:58]
	v_fma_f64 v[110:111], v[44:45], v[247:248], -v[59:60]
	v_add_f64_e32 v[153:154], v[64:65], v[76:77]
	v_add_f64_e32 v[155:156], v[66:67], v[78:79]
	v_fma_f64 v[112:113], v[48:49], v[26:27], -v[40:41]
	v_fma_f64 v[114:115], v[50:51], v[26:27], v[42:43]
	ds_load_b128 v[40:43], v255 offset:2448
	ds_load_b128 v[57:60], v255 offset:2176
	s_clause 0x1
	global_load_b128 v[36:39], v56, s[6:7] offset:32
	global_load_b128 v[26:29], v56, s[6:7] offset:48
	v_add_f64_e32 v[82:83], v[76:77], v[110:111]
	v_add_f64_e32 v[102:103], v[78:79], v[108:109]
	s_wait_loadcnt_dscnt 0x201
	v_mul_f64_e32 v[44:45], v[40:41], v[253:254]
	s_delay_alu instid0(VALU_DEP_1) | instskip(SKIP_1) | instid1(VALU_DEP_2)
	v_fma_f64 v[116:117], v[42:43], v[251:252], v[44:45]
	v_mul_f64_e32 v[42:43], v[42:43], v[253:254]
	v_add_f64_e32 v[169:170], v[114:115], v[116:117]
	s_delay_alu instid0(VALU_DEP_2) | instskip(NEXT) | instid1(VALU_DEP_1)
	v_fma_f64 v[118:119], v[40:41], v[251:252], -v[42:43]
	v_add_f64_e32 v[165:166], v[112:113], v[118:119]
	s_wait_loadcnt 0x1
	v_mul_f64_e32 v[48:49], v[54:55], v[38:39]
	scratch_store_b128 off, v[36:39], off offset:44 ; 16-byte Folded Spill
	v_fma_f64 v[123:124], v[52:53], v[36:37], -v[48:49]
	v_mul_f64_e32 v[48:49], v[52:53], v[38:39]
	s_delay_alu instid0(VALU_DEP_1)
	v_fma_f64 v[125:126], v[54:55], v[36:37], v[48:49]
	s_clause 0x1
	global_load_b128 v[40:43], v56, s[6:7] offset:112
	global_load_b128 v[36:39], v56, s[6:7] offset:96
	s_wait_loadcnt_dscnt 0x100
	v_mul_f64_e32 v[61:62], v[57:58], v[42:43]
	scratch_store_b128 off, v[40:43], off offset:76 ; 16-byte Folded Spill
	v_fma_f64 v[127:128], v[59:60], v[40:41], v[61:62]
	v_mul_f64_e32 v[59:60], v[59:60], v[42:43]
	s_delay_alu instid0(VALU_DEP_2) | instskip(NEXT) | instid1(VALU_DEP_2)
	v_add_f64_e32 v[177:178], v[125:126], v[127:128]
	v_fma_f64 v[129:130], v[57:58], v[40:41], -v[59:60]
	ds_load_b128 v[57:60], v255 offset:1088
	ds_load_b128 v[68:71], v255 offset:1360
	scratch_store_b128 off, v[26:29], off offset:28 ; 16-byte Folded Spill
	s_wait_dscnt 0x1
	v_mul_f64_e32 v[61:62], v[59:60], v[28:29]
	v_add_f64_e32 v[173:174], v[123:124], v[129:130]
	s_delay_alu instid0(VALU_DEP_2) | instskip(SKIP_1) | instid1(VALU_DEP_1)
	v_fma_f64 v[131:132], v[57:58], v[26:27], -v[61:62]
	v_mul_f64_e32 v[57:58], v[57:58], v[28:29]
	v_fma_f64 v[133:134], v[59:60], v[26:27], v[57:58]
	ds_load_b128 v[57:60], v255 offset:1904
	ds_load_b128 v[72:75], v255 offset:1632
	s_wait_loadcnt 0x0
	scratch_store_b128 off, v[36:39], off offset:60 ; 16-byte Folded Spill
	s_wait_dscnt 0x1
	v_mul_f64_e32 v[61:62], v[59:60], v[38:39]
	s_delay_alu instid0(VALU_DEP_1) | instskip(SKIP_1) | instid1(VALU_DEP_2)
	v_fma_f64 v[135:136], v[57:58], v[36:37], -v[61:62]
	v_mul_f64_e32 v[57:58], v[57:58], v[38:39]
	v_add_f64_e32 v[183:184], v[131:132], v[135:136]
	s_delay_alu instid0(VALU_DEP_2)
	v_fma_f64 v[137:138], v[59:60], v[36:37], v[57:58]
	s_clause 0x1
	global_load_b128 v[36:39], v56, s[6:7] offset:64
	global_load_b128 v[26:29], v56, s[6:7] offset:80
	s_mov_b32 s6, 0x9bcd5057
	s_mov_b32 s7, 0xbfeeb42a
	v_add_f64_e64 v[187:188], v[131:132], -v[135:136]
	scratch_load_b32 v24, off, off offset:8 ; 4-byte Folded Reload
	v_add_f64_e64 v[181:182], v[133:134], -v[137:138]
	v_add_f64_e32 v[189:190], v[133:134], v[137:138]
	v_mul_f64_e32 v[191:192], s[22:23], v[187:188]
	s_wait_alu 0xfffe
	v_mul_f64_e32 v[213:214], s[30:31], v[187:188]
	v_mul_f64_e32 v[227:228], s[24:25], v[187:188]
	;; [unrolled: 1-line block ×7, first 2 shown]
	s_wait_loadcnt 0x2
	v_mul_f64_e32 v[80:81], v[70:71], v[38:39]
	scratch_store_b128 off, v[36:39], off offset:108 ; 16-byte Folded Spill
	s_wait_loadcnt 0x1
	scratch_store_b128 off, v[26:29], off offset:92 ; 16-byte Folded Spill
	s_wait_loadcnt 0x0
	v_lshl_add_u32 v121, v25, 4, v24
	v_fma_f64 v[139:140], v[68:69], v[36:37], -v[80:81]
	v_mul_f64_e32 v[68:69], v[68:69], v[38:39]
	s_delay_alu instid0(VALU_DEP_1) | instskip(SKIP_2) | instid1(VALU_DEP_1)
	v_fma_f64 v[141:142], v[70:71], v[36:37], v[68:69]
	s_wait_dscnt 0x0
	v_mul_f64_e32 v[68:69], v[74:75], v[28:29]
	v_fma_f64 v[143:144], v[72:73], v[26:27], -v[68:69]
	v_mul_f64_e32 v[68:69], v[72:73], v[28:29]
	s_delay_alu instid0(VALU_DEP_2) | instskip(NEXT) | instid1(VALU_DEP_2)
	v_add_f64_e32 v[195:196], v[139:140], v[143:144]
	v_fma_f64 v[145:146], v[74:75], v[26:27], v[68:69]
	v_add_f64_e64 v[68:69], v[78:79], -v[108:109]
	v_add_f64_e64 v[199:200], v[139:140], -v[143:144]
	s_delay_alu instid0(VALU_DEP_3) | instskip(NEXT) | instid1(VALU_DEP_3)
	v_add_f64_e64 v[193:194], v[141:142], -v[145:146]
	v_mul_f64_e32 v[70:71], s[24:25], v[68:69]
	v_mul_f64_e32 v[72:73], s[20:21], v[68:69]
	;; [unrolled: 1-line block ×5, first 2 shown]
	v_add_f64_e32 v[201:202], v[141:142], v[145:146]
	v_mul_f64_e32 v[203:204], s[26:27], v[199:200]
	v_mul_f64_e32 v[217:218], s[34:35], v[199:200]
	;; [unrolled: 1-line block ×4, first 2 shown]
	v_fma_f64 v[84:85], v[82:83], s[16:17], -v[70:71]
	v_fma_f64 v[70:71], v[82:83], s[16:17], v[70:71]
	v_fma_f64 v[86:87], v[82:83], s[10:11], -v[72:73]
	v_fma_f64 v[72:73], v[82:83], s[10:11], v[72:73]
	;; [unrolled: 2-line block ×5, first 2 shown]
	v_add_f64_e64 v[82:83], v[76:77], -v[110:111]
	v_mul_f64_e32 v[215:216], s[34:35], v[193:194]
	v_mul_f64_e32 v[229:230], s[22:23], v[193:194]
	v_add_f64_e32 v[76:77], v[64:65], v[84:85]
	v_add_f64_e32 v[70:71], v[64:65], v[70:71]
	;; [unrolled: 1-line block ×5, first 2 shown]
	v_mul_f64_e32 v[94:95], s[24:25], v[82:83]
	v_mul_f64_e32 v[96:97], s[20:21], v[82:83]
	;; [unrolled: 1-line block ×5, first 2 shown]
	v_fma_f64 v[151:152], v[102:103], s[16:17], -v[94:95]
	v_fma_f64 v[104:105], v[102:103], s[10:11], v[96:97]
	v_fma_f64 v[96:97], v[102:103], s[10:11], -v[96:97]
	v_fma_f64 v[106:107], v[102:103], s[14:15], v[98:99]
	;; [unrolled: 2-line block ×5, first 2 shown]
	v_add_f64_e32 v[102:103], v[64:65], v[86:87]
	v_add_f64_e32 v[78:79], v[66:67], v[151:152]
	v_add_f64_e32 v[104:105], v[66:67], v[104:105]
	v_add_f64_e32 v[151:152], v[64:65], v[72:73]
	v_add_f64_e32 v[72:73], v[64:65], v[88:89]
	v_add_f64_e32 v[88:89], v[66:67], v[106:107]
	v_add_f64_e32 v[147:148], v[66:67], v[147:148]
	v_add_f64_e32 v[100:101], v[66:67], v[100:101]
	v_add_f64_e32 v[149:150], v[66:67], v[149:150]
	v_add_f64_e32 v[159:160], v[66:67], v[82:83]
	v_add_f64_e32 v[161:162], v[66:67], v[98:99]
	v_add_f64_e32 v[163:164], v[66:67], v[96:97]
	v_add_f64_e32 v[66:67], v[66:67], v[94:95]
	v_add_f64_e64 v[94:95], v[114:115], -v[116:117]
	v_add_f64_e64 v[96:97], v[112:113], -v[118:119]
	v_add_f64_e32 v[106:107], v[64:65], v[74:75]
	v_add_f64_e32 v[64:65], v[64:65], v[68:69]
	v_add_f64_e64 v[98:99], v[123:124], -v[129:130]
	v_mul_f64_e32 v[167:168], s[20:21], v[94:95]
	v_mul_f64_e32 v[171:172], s[20:21], v[96:97]
	;; [unrolled: 1-line block ×3, first 2 shown]
	s_mov_b32 s21, 0x3fed1bb4
	s_delay_alu instid0(VALU_DEP_4)
	v_mul_f64_e32 v[179:180], s[18:19], v[98:99]
	v_mul_f64_e32 v[209:210], s[28:29], v[98:99]
	;; [unrolled: 1-line block ×3, first 2 shown]
	s_wait_alu 0xfffe
	v_mul_f64_e32 v[223:224], s[20:21], v[98:99]
	v_mul_f64_e32 v[235:236], s[30:31], v[96:97]
	;; [unrolled: 1-line block ×6, first 2 shown]
	v_fma_f64 v[68:69], v[165:166], s[10:11], v[167:168]
	v_fma_f64 v[82:83], v[169:170], s[14:15], v[235:236]
	s_delay_alu instid0(VALU_DEP_2) | instskip(SKIP_1) | instid1(VALU_DEP_3)
	v_add_f64_e32 v[68:69], v[68:69], v[70:71]
	v_fma_f64 v[70:71], v[169:170], s[10:11], -v[171:172]
	v_add_f64_e32 v[82:83], v[82:83], v[147:148]
	s_delay_alu instid0(VALU_DEP_2) | instskip(SKIP_1) | instid1(VALU_DEP_1)
	v_add_f64_e32 v[70:71], v[70:71], v[78:79]
	v_add_f64_e64 v[78:79], v[125:126], -v[127:128]
	v_mul_f64_e32 v[175:176], s[18:19], v[78:79]
	v_mul_f64_e32 v[207:208], s[28:29], v[78:79]
	;; [unrolled: 1-line block ×5, first 2 shown]
	v_fma_f64 v[74:75], v[173:174], s[14:15], v[175:176]
	s_delay_alu instid0(VALU_DEP_4) | instskip(NEXT) | instid1(VALU_DEP_2)
	v_fma_f64 v[80:81], v[173:174], s[10:11], -v[221:222]
	v_add_f64_e32 v[68:69], v[74:75], v[68:69]
	v_fma_f64 v[74:75], v[177:178], s[14:15], -v[179:180]
	s_delay_alu instid0(VALU_DEP_1) | instskip(SKIP_1) | instid1(VALU_DEP_1)
	v_add_f64_e32 v[70:71], v[74:75], v[70:71]
	v_fma_f64 v[74:75], v[183:184], s[8:9], v[185:186]
	v_add_f64_e32 v[68:69], v[74:75], v[68:69]
	v_fma_f64 v[74:75], v[189:190], s[8:9], -v[191:192]
	s_delay_alu instid0(VALU_DEP_1) | instskip(SKIP_1) | instid1(VALU_DEP_1)
	v_add_f64_e32 v[70:71], v[74:75], v[70:71]
	v_fma_f64 v[74:75], v[195:196], s[6:7], v[197:198]
	v_add_f64_e32 v[84:85], v[74:75], v[68:69]
	v_fma_f64 v[68:69], v[201:202], s[6:7], -v[203:204]
	v_fma_f64 v[74:75], v[173:174], s[6:7], -v[207:208]
	s_delay_alu instid0(VALU_DEP_2) | instskip(SKIP_1) | instid1(VALU_DEP_1)
	v_add_f64_e32 v[86:87], v[68:69], v[70:71]
	v_fma_f64 v[68:69], v[165:166], s[8:9], -v[205:206]
	v_add_f64_e32 v[68:69], v[68:69], v[102:103]
	v_mul_f64_e32 v[102:103], s[22:23], v[96:97]
	s_delay_alu instid0(VALU_DEP_2) | instskip(NEXT) | instid1(VALU_DEP_2)
	v_add_f64_e32 v[68:69], v[74:75], v[68:69]
	v_fma_f64 v[70:71], v[169:170], s[8:9], v[102:103]
	v_fma_f64 v[74:75], v[177:178], s[6:7], v[209:210]
	s_delay_alu instid0(VALU_DEP_2) | instskip(SKIP_2) | instid1(VALU_DEP_3)
	v_add_f64_e32 v[70:71], v[70:71], v[104:105]
	v_mul_f64_e32 v[104:105], s[28:29], v[94:95]
	v_mul_f64_e32 v[94:95], s[34:35], v[94:95]
	v_add_f64_e32 v[70:71], v[74:75], v[70:71]
	v_fma_f64 v[74:75], v[183:184], s[14:15], -v[211:212]
	s_delay_alu instid0(VALU_DEP_1) | instskip(SKIP_1) | instid1(VALU_DEP_1)
	v_add_f64_e32 v[68:69], v[74:75], v[68:69]
	v_fma_f64 v[74:75], v[189:190], s[14:15], v[213:214]
	v_add_f64_e32 v[70:71], v[74:75], v[70:71]
	v_fma_f64 v[74:75], v[195:196], s[16:17], -v[215:216]
	s_delay_alu instid0(VALU_DEP_1) | instskip(SKIP_1) | instid1(VALU_DEP_1)
	v_add_f64_e32 v[68:69], v[74:75], v[68:69]
	v_fma_f64 v[74:75], v[201:202], s[16:17], v[217:218]
	v_add_f64_e32 v[70:71], v[74:75], v[70:71]
	v_fma_f64 v[74:75], v[165:166], s[6:7], -v[104:105]
	s_delay_alu instid0(VALU_DEP_1) | instskip(SKIP_1) | instid1(VALU_DEP_2)
	v_add_f64_e32 v[72:73], v[74:75], v[72:73]
	v_fma_f64 v[74:75], v[169:170], s[6:7], v[219:220]
	v_add_f64_e32 v[72:73], v[80:81], v[72:73]
	s_delay_alu instid0(VALU_DEP_2) | instskip(SKIP_2) | instid1(VALU_DEP_2)
	v_add_f64_e32 v[74:75], v[74:75], v[88:89]
	v_fma_f64 v[80:81], v[177:178], s[10:11], v[223:224]
	v_fma_f64 v[88:89], v[173:174], s[16:17], -v[147:148]
	v_add_f64_e32 v[74:75], v[80:81], v[74:75]
	v_fma_f64 v[80:81], v[183:184], s[16:17], -v[225:226]
	s_delay_alu instid0(VALU_DEP_1) | instskip(SKIP_1) | instid1(VALU_DEP_1)
	v_add_f64_e32 v[72:73], v[80:81], v[72:73]
	v_fma_f64 v[80:81], v[189:190], s[16:17], v[227:228]
	v_add_f64_e32 v[74:75], v[80:81], v[74:75]
	v_fma_f64 v[80:81], v[195:196], s[8:9], -v[229:230]
	s_delay_alu instid0(VALU_DEP_1) | instskip(SKIP_1) | instid1(VALU_DEP_1)
	v_add_f64_e32 v[72:73], v[80:81], v[72:73]
	v_fma_f64 v[80:81], v[201:202], s[8:9], v[231:232]
	v_add_f64_e32 v[74:75], v[80:81], v[74:75]
	v_fma_f64 v[80:81], v[165:166], s[14:15], -v[233:234]
	s_delay_alu instid0(VALU_DEP_1) | instskip(NEXT) | instid1(VALU_DEP_1)
	v_add_f64_e32 v[80:81], v[80:81], v[90:91]
	v_add_f64_e32 v[80:81], v[88:89], v[80:81]
	v_fma_f64 v[88:89], v[177:178], s[16:17], v[237:238]
	s_delay_alu instid0(VALU_DEP_1) | instskip(SKIP_1) | instid1(VALU_DEP_1)
	v_add_f64_e32 v[82:83], v[88:89], v[82:83]
	v_fma_f64 v[88:89], v[183:184], s[6:7], -v[239:240]
	v_add_f64_e32 v[80:81], v[88:89], v[80:81]
	v_fma_f64 v[88:89], v[189:190], s[6:7], v[241:242]
	s_delay_alu instid0(VALU_DEP_1) | instskip(SKIP_1) | instid1(VALU_DEP_1)
	v_add_f64_e32 v[82:83], v[88:89], v[82:83]
	v_fma_f64 v[88:89], v[195:196], s[10:11], -v[243:244]
	v_add_f64_e32 v[80:81], v[88:89], v[80:81]
	v_fma_f64 v[88:89], v[201:202], s[10:11], v[245:246]
	s_delay_alu instid0(VALU_DEP_1) | instskip(SKIP_2) | instid1(VALU_DEP_2)
	v_add_f64_e32 v[82:83], v[88:89], v[82:83]
	v_fma_f64 v[88:89], v[165:166], s[16:17], -v[94:95]
	v_fma_f64 v[94:95], v[165:166], s[16:17], v[94:95]
	v_add_f64_e32 v[88:89], v[88:89], v[92:93]
	v_mul_f64_e32 v[92:93], s[34:35], v[96:97]
	v_fma_f64 v[96:97], v[173:174], s[8:9], -v[78:79]
	s_delay_alu instid0(VALU_DEP_4) | instskip(SKIP_1) | instid1(VALU_DEP_4)
	v_add_f64_e32 v[64:65], v[94:95], v[64:65]
	v_fma_f64 v[78:79], v[173:174], s[8:9], v[78:79]
	v_fma_f64 v[90:91], v[169:170], s[16:17], v[92:93]
	s_delay_alu instid0(VALU_DEP_4) | instskip(SKIP_4) | instid1(VALU_DEP_4)
	v_add_f64_e32 v[88:89], v[96:97], v[88:89]
	v_mul_f64_e32 v[96:97], s[22:23], v[98:99]
	v_fma_f64 v[92:93], v[169:170], s[16:17], -v[92:93]
	v_add_f64_e32 v[64:65], v[78:79], v[64:65]
	v_add_f64_e32 v[90:91], v[90:91], v[149:150]
	v_fma_f64 v[98:99], v[177:178], s[8:9], v[96:97]
	s_delay_alu instid0(VALU_DEP_4)
	v_add_f64_e32 v[92:93], v[92:93], v[159:160]
	v_fma_f64 v[78:79], v[177:178], s[8:9], -v[96:97]
	v_fma_f64 v[96:97], v[173:174], s[16:17], v[147:148]
	v_fma_f64 v[147:148], v[173:174], s[14:15], -v[175:176]
	v_add_f64_e32 v[90:91], v[98:99], v[90:91]
	v_mul_f64_e32 v[98:99], s[20:21], v[181:182]
	v_add_f64_e32 v[78:79], v[78:79], v[92:93]
	s_delay_alu instid0(VALU_DEP_2) | instskip(SKIP_2) | instid1(VALU_DEP_3)
	v_fma_f64 v[149:150], v[183:184], s[10:11], -v[98:99]
	v_fma_f64 v[92:93], v[183:184], s[10:11], v[98:99]
	v_fma_f64 v[98:99], v[201:202], s[10:11], -v[245:246]
	v_add_f64_e32 v[88:89], v[149:150], v[88:89]
	v_mul_f64_e32 v[149:150], s[20:21], v[187:188]
	s_delay_alu instid0(VALU_DEP_4) | instskip(SKIP_1) | instid1(VALU_DEP_3)
	v_add_f64_e32 v[64:65], v[92:93], v[64:65]
	v_mul_f64_e32 v[187:188], s[18:19], v[199:200]
	v_fma_f64 v[181:182], v[189:190], s[10:11], v[149:150]
	v_fma_f64 v[92:93], v[189:190], s[10:11], -v[149:150]
	s_delay_alu instid0(VALU_DEP_3) | instskip(SKIP_1) | instid1(VALU_DEP_4)
	v_fma_f64 v[94:95], v[201:202], s[14:15], -v[187:188]
	v_fma_f64 v[149:150], v[177:178], s[14:15], v[179:180]
	v_add_f64_e32 v[90:91], v[181:182], v[90:91]
	v_mul_f64_e32 v[181:182], s[18:19], v[193:194]
	v_add_f64_e32 v[78:79], v[92:93], v[78:79]
	s_delay_alu instid0(VALU_DEP_2) | instskip(NEXT) | instid1(VALU_DEP_2)
	v_fma_f64 v[92:93], v[195:196], s[14:15], v[181:182]
	v_add_f64_e32 v[94:95], v[94:95], v[78:79]
	v_fma_f64 v[78:79], v[169:170], s[14:15], -v[235:236]
	v_fma_f64 v[193:194], v[195:196], s[14:15], -v[181:182]
	s_delay_alu instid0(VALU_DEP_4) | instskip(SKIP_1) | instid1(VALU_DEP_4)
	v_add_f64_e32 v[92:93], v[92:93], v[64:65]
	v_fma_f64 v[64:65], v[165:166], s[14:15], v[233:234]
	v_add_f64_e32 v[78:79], v[78:79], v[100:101]
	v_fma_f64 v[100:101], v[173:174], s[10:11], v[221:222]
	;; [unrolled: 2-line block ×3, first 2 shown]
	v_add_f64_e32 v[64:65], v[64:65], v[157:158]
	s_delay_alu instid0(VALU_DEP_2) | instskip(NEXT) | instid1(VALU_DEP_2)
	v_add_f64_e32 v[90:91], v[193:194], v[90:91]
	v_add_f64_e32 v[64:65], v[96:97], v[64:65]
	v_fma_f64 v[96:97], v[177:178], s[16:17], -v[237:238]
	s_delay_alu instid0(VALU_DEP_1) | instskip(SKIP_1) | instid1(VALU_DEP_1)
	v_add_f64_e32 v[78:79], v[96:97], v[78:79]
	v_fma_f64 v[96:97], v[183:184], s[6:7], v[239:240]
	v_add_f64_e32 v[64:65], v[96:97], v[64:65]
	v_fma_f64 v[96:97], v[189:190], s[6:7], -v[241:242]
	s_delay_alu instid0(VALU_DEP_1) | instskip(SKIP_1) | instid1(VALU_DEP_2)
	v_add_f64_e32 v[78:79], v[96:97], v[78:79]
	v_fma_f64 v[96:97], v[195:196], s[10:11], v[243:244]
	v_add_f64_e32 v[98:99], v[98:99], v[78:79]
	s_delay_alu instid0(VALU_DEP_2) | instskip(SKIP_2) | instid1(VALU_DEP_2)
	v_add_f64_e32 v[96:97], v[96:97], v[64:65]
	v_fma_f64 v[64:65], v[165:166], s[6:7], v[104:105]
	v_fma_f64 v[78:79], v[169:170], s[6:7], -v[219:220]
	v_add_f64_e32 v[64:65], v[64:65], v[106:107]
	s_delay_alu instid0(VALU_DEP_2) | instskip(SKIP_1) | instid1(VALU_DEP_3)
	v_add_f64_e32 v[78:79], v[78:79], v[161:162]
	v_fma_f64 v[106:107], v[201:202], s[8:9], -v[231:232]
	v_add_f64_e32 v[64:65], v[100:101], v[64:65]
	v_fma_f64 v[100:101], v[177:178], s[10:11], -v[223:224]
	s_delay_alu instid0(VALU_DEP_1) | instskip(SKIP_1) | instid1(VALU_DEP_1)
	v_add_f64_e32 v[78:79], v[100:101], v[78:79]
	v_fma_f64 v[100:101], v[183:184], s[16:17], v[225:226]
	v_add_f64_e32 v[64:65], v[100:101], v[64:65]
	v_fma_f64 v[100:101], v[189:190], s[16:17], -v[227:228]
	s_delay_alu instid0(VALU_DEP_1) | instskip(SKIP_1) | instid1(VALU_DEP_2)
	v_add_f64_e32 v[78:79], v[100:101], v[78:79]
	v_fma_f64 v[100:101], v[195:196], s[8:9], v[229:230]
	v_add_f64_e32 v[106:107], v[106:107], v[78:79]
	s_delay_alu instid0(VALU_DEP_2) | instskip(SKIP_4) | instid1(VALU_DEP_4)
	v_add_f64_e32 v[104:105], v[100:101], v[64:65]
	v_fma_f64 v[64:65], v[165:166], s[8:9], v[205:206]
	v_fma_f64 v[78:79], v[169:170], s[8:9], -v[102:103]
	v_fma_f64 v[100:101], v[173:174], s[6:7], v[207:208]
	v_fma_f64 v[102:103], v[201:202], s[16:17], -v[217:218]
	v_add_f64_e32 v[64:65], v[64:65], v[151:152]
	s_delay_alu instid0(VALU_DEP_4) | instskip(NEXT) | instid1(VALU_DEP_2)
	v_add_f64_e32 v[78:79], v[78:79], v[163:164]
	v_add_f64_e32 v[64:65], v[100:101], v[64:65]
	v_fma_f64 v[100:101], v[177:178], s[6:7], -v[209:210]
	s_delay_alu instid0(VALU_DEP_1) | instskip(SKIP_1) | instid1(VALU_DEP_1)
	v_add_f64_e32 v[78:79], v[100:101], v[78:79]
	v_fma_f64 v[100:101], v[183:184], s[14:15], v[211:212]
	v_add_f64_e32 v[64:65], v[100:101], v[64:65]
	v_fma_f64 v[100:101], v[189:190], s[14:15], -v[213:214]
	s_delay_alu instid0(VALU_DEP_1) | instskip(SKIP_1) | instid1(VALU_DEP_2)
	v_add_f64_e32 v[78:79], v[100:101], v[78:79]
	v_fma_f64 v[100:101], v[195:196], s[16:17], v[215:216]
	v_add_f64_e32 v[102:103], v[102:103], v[78:79]
	s_delay_alu instid0(VALU_DEP_2) | instskip(SKIP_2) | instid1(VALU_DEP_2)
	v_add_f64_e32 v[100:101], v[100:101], v[64:65]
	v_fma_f64 v[64:65], v[165:166], s[10:11], -v[167:168]
	v_fma_f64 v[78:79], v[169:170], s[10:11], v[171:172]
	v_add_f64_e32 v[64:65], v[64:65], v[76:77]
	s_delay_alu instid0(VALU_DEP_2) | instskip(SKIP_2) | instid1(VALU_DEP_4)
	v_add_f64_e32 v[66:67], v[78:79], v[66:67]
	v_fma_f64 v[76:77], v[183:184], s[8:9], -v[185:186]
	v_fma_f64 v[78:79], v[189:190], s[8:9], v[191:192]
	v_add_f64_e32 v[64:65], v[147:148], v[64:65]
	s_delay_alu instid0(VALU_DEP_4) | instskip(SKIP_2) | instid1(VALU_DEP_4)
	v_add_f64_e32 v[66:67], v[149:150], v[66:67]
	v_fma_f64 v[147:148], v[195:196], s[6:7], -v[197:198]
	v_fma_f64 v[149:150], v[201:202], s[6:7], v[203:204]
	v_add_f64_e32 v[64:65], v[76:77], v[64:65]
	s_delay_alu instid0(VALU_DEP_4) | instskip(NEXT) | instid1(VALU_DEP_2)
	v_add_f64_e32 v[66:67], v[78:79], v[66:67]
	v_add_f64_e32 v[76:77], v[147:148], v[64:65]
	s_delay_alu instid0(VALU_DEP_2) | instskip(SKIP_2) | instid1(VALU_DEP_2)
	v_add_f64_e32 v[78:79], v[149:150], v[66:67]
	v_add_f64_e32 v[64:65], v[153:154], v[112:113]
	;; [unrolled: 1-line block ×4, first 2 shown]
	s_delay_alu instid0(VALU_DEP_2) | instskip(NEXT) | instid1(VALU_DEP_2)
	v_add_f64_e32 v[66:67], v[66:67], v[125:126]
	v_add_f64_e32 v[64:65], v[64:65], v[131:132]
	s_delay_alu instid0(VALU_DEP_2) | instskip(NEXT) | instid1(VALU_DEP_2)
	v_add_f64_e32 v[66:67], v[66:67], v[133:134]
	v_add_f64_e32 v[64:65], v[64:65], v[139:140]
	;; [unrolled: 3-line block ×7, first 2 shown]
	s_delay_alu instid0(VALU_DEP_2)
	v_add_f64_e32 v[66:67], v[66:67], v[108:109]
	ds_store_b128 v121, v[68:71] offset:544
	ds_store_b128 v121, v[72:75] offset:816
	;; [unrolled: 1-line block ×10, first 2 shown]
	ds_store_b128 v121, v[64:67]
	global_wb scope:SCOPE_SE
	s_wait_storecnt_dscnt 0x0
	s_barrier_signal -1
	s_barrier_wait -1
	global_inv scope:SCOPE_SE
	s_and_saveexec_b32 s8, vcc_lo
	s_cbranch_execz .LBB0_9
; %bb.8:
	scratch_load_b32 v24, off, off offset:4 ; 4-byte Folded Reload
	s_add_nc_u64 s[6:7], s[4:5], 0xbb0
	s_wait_loadcnt 0x0
	s_clause 0x4
	global_load_b128 v[108:111], v24, s[4:5] offset:2992
	global_load_b128 v[112:115], v24, s[6:7] offset:176
	;; [unrolled: 1-line block ×5, first 2 shown]
	ds_load_b128 v[131:134], v121
	ds_load_b128 v[135:138], v121 offset:176
	ds_load_b128 v[139:142], v121 offset:352
	s_wait_loadcnt_dscnt 0x301
	v_mul_f64_e32 v[147:148], v[137:138], v[114:115]
	v_mul_f64_e32 v[114:115], v[135:136], v[114:115]
	;; [unrolled: 1-line block ×4, first 2 shown]
	s_delay_alu instid0(VALU_DEP_4) | instskip(NEXT) | instid1(VALU_DEP_4)
	v_fma_f64 v[135:136], v[135:136], v[112:113], -v[147:148]
	v_fma_f64 v[137:138], v[137:138], v[112:113], v[114:115]
	s_delay_alu instid0(VALU_DEP_4) | instskip(NEXT) | instid1(VALU_DEP_4)
	v_fma_f64 v[131:132], v[131:132], v[108:109], -v[143:144]
	v_fma_f64 v[133:134], v[133:134], v[108:109], v[110:111]
	ds_load_b128 v[108:111], v121 offset:528
	global_load_b128 v[143:146], v24, s[6:7] offset:880
	s_wait_loadcnt_dscnt 0x301
	v_mul_f64_e32 v[112:113], v[141:142], v[118:119]
	v_mul_f64_e32 v[114:115], v[139:140], v[118:119]
	s_wait_loadcnt_dscnt 0x200
	v_mul_f64_e32 v[147:148], v[110:111], v[125:126]
	v_mul_f64_e32 v[125:126], v[108:109], v[125:126]
	s_delay_alu instid0(VALU_DEP_4) | instskip(NEXT) | instid1(VALU_DEP_4)
	v_fma_f64 v[112:113], v[139:140], v[116:117], -v[112:113]
	v_fma_f64 v[114:115], v[141:142], v[116:117], v[114:115]
	ds_load_b128 v[116:119], v121 offset:704
	ds_load_b128 v[139:142], v121 offset:880
	v_fma_f64 v[108:109], v[108:109], v[123:124], -v[147:148]
	v_fma_f64 v[110:111], v[110:111], v[123:124], v[125:126]
	global_load_b128 v[123:126], v24, s[6:7] offset:1056
	s_wait_loadcnt_dscnt 0x201
	v_mul_f64_e32 v[147:148], v[118:119], v[129:130]
	v_mul_f64_e32 v[129:130], v[116:117], v[129:130]
	s_delay_alu instid0(VALU_DEP_2) | instskip(NEXT) | instid1(VALU_DEP_2)
	v_fma_f64 v[116:117], v[116:117], v[127:128], -v[147:148]
	v_fma_f64 v[118:119], v[118:119], v[127:128], v[129:130]
	global_load_b128 v[127:130], v24, s[6:7] offset:1232
	s_wait_loadcnt_dscnt 0x200
	v_mul_f64_e32 v[147:148], v[141:142], v[145:146]
	v_mul_f64_e32 v[145:146], v[139:140], v[145:146]
	s_delay_alu instid0(VALU_DEP_2) | instskip(NEXT) | instid1(VALU_DEP_2)
	v_fma_f64 v[139:140], v[139:140], v[143:144], -v[147:148]
	v_fma_f64 v[141:142], v[141:142], v[143:144], v[145:146]
	ds_load_b128 v[143:146], v121 offset:1056
	ds_load_b128 v[147:150], v121 offset:1232
	s_wait_loadcnt_dscnt 0x101
	v_mul_f64_e32 v[151:152], v[145:146], v[125:126]
	v_mul_f64_e32 v[125:126], v[143:144], v[125:126]
	s_delay_alu instid0(VALU_DEP_2) | instskip(NEXT) | instid1(VALU_DEP_2)
	v_fma_f64 v[143:144], v[143:144], v[123:124], -v[151:152]
	v_fma_f64 v[145:146], v[145:146], v[123:124], v[125:126]
	s_wait_loadcnt_dscnt 0x0
	v_mul_f64_e32 v[123:124], v[149:150], v[129:130]
	v_mul_f64_e32 v[125:126], v[147:148], v[129:130]
	s_delay_alu instid0(VALU_DEP_2) | instskip(NEXT) | instid1(VALU_DEP_2)
	v_fma_f64 v[123:124], v[147:148], v[127:128], -v[123:124]
	v_fma_f64 v[125:126], v[149:150], v[127:128], v[125:126]
	s_clause 0x1
	global_load_b128 v[127:130], v24, s[6:7] offset:1408
	global_load_b128 v[147:150], v24, s[6:7] offset:1584
	ds_load_b128 v[151:154], v121 offset:1408
	ds_load_b128 v[155:158], v121 offset:1584
	s_wait_loadcnt_dscnt 0x101
	v_mul_f64_e32 v[159:160], v[153:154], v[129:130]
	v_mul_f64_e32 v[129:130], v[151:152], v[129:130]
	s_delay_alu instid0(VALU_DEP_2) | instskip(NEXT) | instid1(VALU_DEP_2)
	v_fma_f64 v[151:152], v[151:152], v[127:128], -v[159:160]
	v_fma_f64 v[153:154], v[153:154], v[127:128], v[129:130]
	s_wait_loadcnt_dscnt 0x0
	v_mul_f64_e32 v[127:128], v[157:158], v[149:150]
	v_mul_f64_e32 v[129:130], v[155:156], v[149:150]
	s_delay_alu instid0(VALU_DEP_2) | instskip(NEXT) | instid1(VALU_DEP_2)
	v_fma_f64 v[127:128], v[155:156], v[147:148], -v[127:128]
	v_fma_f64 v[129:130], v[157:158], v[147:148], v[129:130]
	s_clause 0x1
	global_load_b128 v[147:150], v24, s[6:7] offset:1760
	global_load_b128 v[155:158], v24, s[6:7] offset:1936
	;; [unrolled: 17-line block ×4, first 2 shown]
	ds_load_b128 v[175:178], v121 offset:2464
	ds_load_b128 v[179:182], v121 offset:2640
	s_wait_loadcnt_dscnt 0x101
	v_mul_f64_e32 v[183:184], v[177:178], v[165:166]
	v_mul_f64_e32 v[165:166], v[175:176], v[165:166]
	s_delay_alu instid0(VALU_DEP_2) | instskip(NEXT) | instid1(VALU_DEP_2)
	v_fma_f64 v[175:176], v[175:176], v[163:164], -v[183:184]
	v_fma_f64 v[177:178], v[177:178], v[163:164], v[165:166]
	s_wait_loadcnt_dscnt 0x0
	v_mul_f64_e32 v[163:164], v[181:182], v[173:174]
	v_mul_f64_e32 v[165:166], v[179:180], v[173:174]
	s_delay_alu instid0(VALU_DEP_2) | instskip(NEXT) | instid1(VALU_DEP_2)
	v_fma_f64 v[163:164], v[179:180], v[171:172], -v[163:164]
	v_fma_f64 v[165:166], v[181:182], v[171:172], v[165:166]
	global_load_b128 v[171:174], v24, s[6:7] offset:2816
	ds_load_b128 v[179:182], v121 offset:2816
	s_wait_loadcnt_dscnt 0x0
	v_mul_f64_e32 v[183:184], v[181:182], v[173:174]
	v_mul_f64_e32 v[173:174], v[179:180], v[173:174]
	s_delay_alu instid0(VALU_DEP_2) | instskip(NEXT) | instid1(VALU_DEP_2)
	v_fma_f64 v[179:180], v[179:180], v[171:172], -v[183:184]
	v_fma_f64 v[181:182], v[181:182], v[171:172], v[173:174]
	ds_store_b128 v121, v[131:134]
	ds_store_b128 v121, v[135:138] offset:176
	ds_store_b128 v121, v[112:115] offset:352
	;; [unrolled: 1-line block ×16, first 2 shown]
.LBB0_9:
	s_wait_alu 0xfffe
	s_or_b32 exec_lo, exec_lo, s8
	global_wb scope:SCOPE_SE
	s_wait_dscnt 0x0
	s_barrier_signal -1
	s_barrier_wait -1
	global_inv scope:SCOPE_SE
	s_and_saveexec_b32 s6, vcc_lo
	s_cbranch_execz .LBB0_11
; %bb.10:
	ds_load_b128 v[64:67], v121
	ds_load_b128 v[76:79], v121 offset:176
	ds_load_b128 v[68:71], v121 offset:352
	;; [unrolled: 1-line block ×16, first 2 shown]
.LBB0_11:
	s_wait_alu 0xfffe
	s_or_b32 exec_lo, exec_lo, s6
	global_wb scope:SCOPE_SE
	s_wait_dscnt 0x0
	s_barrier_signal -1
	s_barrier_wait -1
	global_inv scope:SCOPE_SE
	s_and_saveexec_b32 s33, vcc_lo
	s_cbranch_execz .LBB0_13
; %bb.12:
	v_add_f64_e32 v[110:111], v[64:65], v[76:77]
	v_add_f64_e32 v[108:109], v[66:67], v[78:79]
	v_add_f64_e64 v[118:119], v[68:69], -v[4:5]
	s_mov_b32 s24, 0x6c9a05f6
	s_mov_b32 s25, 0xbfe9895b
	;; [unrolled: 1-line block ×11, first 2 shown]
	s_wait_alu 0xfffe
	s_mov_b32 s42, s26
	s_mov_b32 s16, 0x3259b75e
	;; [unrolled: 1-line block ×6, first 2 shown]
	s_wait_alu 0xfffe
	s_mov_b32 s48, s34
	s_mov_b32 s20, 0x75d4884
	;; [unrolled: 1-line block ×13, first 2 shown]
	s_wait_alu 0xfffe
	s_mov_b32 s28, s40
	s_mov_b32 s36, s44
	;; [unrolled: 1-line block ×5, first 2 shown]
	v_add_f64_e32 v[110:111], v[110:111], v[68:69]
	v_add_f64_e32 v[108:109], v[108:109], v[70:71]
	;; [unrolled: 1-line block ×3, first 2 shown]
	s_mov_b32 s22, 0x370991
	s_mov_b32 s19, 0x3fdc86fa
	;; [unrolled: 1-line block ×8, first 2 shown]
	v_mul_f64_e32 v[201:202], s[48:49], v[118:119]
	v_mul_f64_e32 v[229:230], s[42:43], v[118:119]
	;; [unrolled: 1-line block ×3, first 2 shown]
	v_add_f64_e32 v[110:111], v[110:111], v[72:73]
	v_add_f64_e32 v[108:109], v[108:109], v[74:75]
	s_delay_alu instid0(VALU_DEP_2) | instskip(NEXT) | instid1(VALU_DEP_2)
	v_add_f64_e32 v[110:111], v[110:111], v[80:81]
	v_add_f64_e32 v[108:109], v[108:109], v[82:83]
	s_delay_alu instid0(VALU_DEP_2) | instskip(NEXT) | instid1(VALU_DEP_2)
	;; [unrolled: 3-line block ×5, first 2 shown]
	v_add_f64_e32 v[114:115], v[110:111], v[104:105]
	v_add_f64_e32 v[112:113], v[108:109], v[106:107]
	v_add_f64_e64 v[110:111], v[104:105], -v[100:101]
	v_add_f64_e32 v[108:109], v[106:107], v[102:103]
	v_add_f64_e32 v[104:105], v[104:105], v[100:101]
	v_add_f64_e64 v[106:107], v[106:107], -v[102:103]
	;; [unrolled: 3-line block ×4, first 2 shown]
	v_mul_f64_e32 v[195:196], s[26:27], v[106:107]
	v_mul_f64_e32 v[193:194], s[26:27], v[110:111]
	;; [unrolled: 1-line block ×6, first 2 shown]
	v_add_f64_e32 v[114:115], v[114:115], v[84:85]
	v_add_f64_e32 v[116:117], v[112:113], v[86:87]
	v_add_f64_e64 v[112:113], v[92:93], -v[20:21]
	v_add_f64_e32 v[86:87], v[94:95], v[22:23]
	v_add_f64_e32 v[84:85], v[92:93], v[20:21]
	v_add_f64_e64 v[92:93], v[94:95], -v[22:23]
	v_add_f64_e64 v[94:95], v[88:89], -v[16:17]
	v_mul_f64_e32 v[221:222], s[38:39], v[102:103]
	v_mul_f64_e32 v[223:224], s[38:39], v[98:99]
	;; [unrolled: 1-line block ×3, first 2 shown]
	v_add_f64_e32 v[114:115], v[114:115], v[20:21]
	v_add_f64_e32 v[116:117], v[116:117], v[22:23]
	v_add_f64_e32 v[22:23], v[90:91], v[18:19]
	v_add_f64_e32 v[20:21], v[88:89], v[16:17]
	v_add_f64_e64 v[88:89], v[90:91], -v[18:19]
	v_add_f64_e64 v[90:91], v[80:81], -v[12:13]
	v_mul_f64_e32 v[213:214], s[46:47], v[94:95]
	v_mul_f64_e32 v[217:218], s[24:25], v[112:113]
	;; [unrolled: 1-line block ×3, first 2 shown]
	s_wait_alu 0xfffe
	v_mul_f64_e32 v[245:246], s[52:53], v[112:113]
	v_mul_f64_e32 v[44:45], s[28:29], v[92:93]
	v_fma_f64 v[50:51], v[96:97], s[16:17], v[48:49]
	v_mul_f64_e32 v[60:61], s[36:37], v[94:95]
	v_add_f64_e32 v[114:115], v[114:115], v[16:17]
	v_add_f64_e32 v[116:117], v[116:117], v[18:19]
	v_add_f64_e32 v[16:17], v[80:81], v[12:13]
	v_add_f64_e32 v[18:19], v[82:83], v[14:15]
	v_add_f64_e64 v[82:83], v[82:83], -v[14:15]
	v_add_f64_e32 v[80:81], v[74:75], v[10:11]
	v_add_f64_e64 v[74:75], v[74:75], -v[10:11]
	v_mul_f64_e32 v[209:210], s[42:43], v[90:91]
	v_mul_f64_e32 v[215:216], s[46:47], v[88:89]
	;; [unrolled: 1-line block ×4, first 2 shown]
	v_fma_f64 v[46:47], v[84:85], s[22:23], v[44:45]
	v_mul_f64_e32 v[56:57], s[40:41], v[90:91]
	v_fma_f64 v[62:63], v[22:23], s[18:19], -v[60:61]
	v_add_f64_e32 v[12:13], v[114:115], v[12:13]
	v_add_f64_e32 v[14:15], v[116:117], v[14:15]
	v_add_f64_e64 v[114:115], v[72:73], -v[8:9]
	v_add_f64_e32 v[72:73], v[72:73], v[8:9]
	v_add_f64_e64 v[116:117], v[70:71], -v[6:7]
	v_add_f64_e32 v[70:71], v[70:71], v[6:7]
	v_mul_f64_e32 v[207:208], s[36:37], v[74:75]
	v_mul_f64_e32 v[211:212], s[42:43], v[82:83]
	;; [unrolled: 1-line block ×5, first 2 shown]
	v_fma_f64 v[42:43], v[20:21], s[20:21], v[40:41]
	v_mul_f64_e32 v[52:53], s[52:53], v[74:75]
	v_fma_f64 v[58:59], v[18:19], s[22:23], -v[56:57]
	v_add_f64_e32 v[8:9], v[12:13], v[8:9]
	v_add_f64_e32 v[10:11], v[14:15], v[10:11]
	;; [unrolled: 1-line block ×4, first 2 shown]
	v_mul_f64_e32 v[203:204], s[48:49], v[116:117]
	v_mul_f64_e32 v[205:206], s[36:37], v[114:115]
	;; [unrolled: 1-line block ×5, first 2 shown]
	v_fma_f64 v[26:27], v[70:71], s[10:11], -v[24:25]
	v_fma_f64 v[38:39], v[16:17], s[14:15], v[36:37]
	v_fma_f64 v[54:55], v[72:73], s[14:15], v[52:53]
	v_add_f64_e32 v[4:5], v[8:9], v[4:5]
	v_add_f64_e64 v[8:9], v[76:77], -v[0:1]
	v_add_f64_e32 v[6:7], v[10:11], v[6:7]
	v_add_f64_e64 v[10:11], v[78:79], -v[2:3]
	v_fma_f64 v[30:31], v[68:69], s[10:11], v[28:29]
	v_add_f64_e32 v[0:1], v[4:5], v[0:1]
	v_mul_f64_e32 v[76:77], s[24:25], v[8:9]
	v_add_f64_e32 v[2:3], v[6:7], v[2:3]
	v_mul_f64_e32 v[78:79], s[46:47], v[8:9]
	v_mul_f64_e32 v[149:150], s[46:47], v[10:11]
	;; [unrolled: 1-line block ×13, first 2 shown]
	v_fma_f64 v[133:134], v[12:13], s[10:11], v[76:77]
	v_fma_f64 v[76:77], v[12:13], s[10:11], -v[76:77]
	scratch_store_b128 off, v[0:3], off offset:128 ; 16-byte Folded Spill
	v_fma_f64 v[135:136], v[12:13], s[14:15], v[78:79]
	v_fma_f64 v[163:164], v[14:15], s[14:15], -v[149:150]
	v_fma_f64 v[137:138], v[12:13], s[16:17], v[123:124]
	v_fma_f64 v[165:166], v[14:15], s[16:17], -v[151:152]
	v_fma_f64 v[141:142], v[12:13], s[20:21], -v[127:128]
	v_fma_f64 v[127:128], v[12:13], s[20:21], v[127:128]
	v_fma_f64 v[169:170], v[14:15], s[20:21], v[155:156]
	v_fma_f64 v[155:156], v[14:15], s[20:21], -v[155:156]
	v_fma_f64 v[129:130], v[12:13], s[6:7], v[4:5]
	v_fma_f64 v[4:5], v[12:13], s[6:7], -v[4:5]
	;; [unrolled: 2-line block ×3, first 2 shown]
	v_fma_f64 v[78:79], v[12:13], s[14:15], -v[78:79]
	v_fma_f64 v[123:124], v[12:13], s[16:17], -v[123:124]
	;; [unrolled: 1-line block ×3, first 2 shown]
	v_fma_f64 v[125:126], v[12:13], s[18:19], v[125:126]
	v_fma_f64 v[143:144], v[12:13], s[22:23], -v[8:9]
	v_fma_f64 v[8:9], v[12:13], s[22:23], v[8:9]
	v_mul_f64_e32 v[12:13], s[30:31], v[10:11]
	v_mul_f64_e32 v[10:11], s[28:29], v[10:11]
	v_fma_f64 v[159:160], v[14:15], s[8:9], -v[145:146]
	v_fma_f64 v[145:146], v[14:15], s[8:9], v[145:146]
	v_fma_f64 v[161:162], v[14:15], s[10:11], -v[147:148]
	v_fma_f64 v[147:148], v[14:15], s[10:11], v[147:148]
	v_fma_f64 v[149:150], v[14:15], s[14:15], v[149:150]
	;; [unrolled: 1-line block ×4, first 2 shown]
	v_fma_f64 v[153:154], v[14:15], s[18:19], -v[153:154]
	v_add_f64_e32 v[133:134], v[66:67], v[133:134]
	v_add_f64_e32 v[0:1], v[66:67], v[76:77]
	;; [unrolled: 1-line block ×7, first 2 shown]
	v_mul_f64_e32 v[78:79], s[44:45], v[102:103]
	v_fma_f64 v[157:158], v[14:15], s[6:7], -v[12:13]
	v_fma_f64 v[12:13], v[14:15], s[6:7], v[12:13]
	v_fma_f64 v[171:172], v[14:15], s[22:23], v[10:11]
	v_fma_f64 v[10:11], v[14:15], s[22:23], -v[10:11]
	v_add_f64_e32 v[14:15], v[66:67], v[129:130]
	v_add_f64_e32 v[159:160], v[64:65], v[159:160]
	;; [unrolled: 1-line block ×9, first 2 shown]
	scratch_store_b64 off, v[0:1], off offset:224 ; 8-byte Folded Spill
	v_add_f64_e32 v[0:1], v[66:67], v[135:136]
	v_add_f64_e32 v[135:136], v[66:67], v[141:142]
	;; [unrolled: 1-line block ×8, first 2 shown]
	scratch_store_b64 off, v[0:1], off offset:216 ; 8-byte Folded Spill
	v_add_f64_e32 v[0:1], v[64:65], v[163:164]
	scratch_store_b64 off, v[0:1], off offset:208 ; 8-byte Folded Spill
	v_add_f64_e32 v[0:1], v[66:67], v[137:138]
	v_add_f64_e32 v[137:138], v[66:67], v[143:144]
	;; [unrolled: 1-line block ×4, first 2 shown]
	scratch_store_b64 off, v[0:1], off offset:200 ; 8-byte Folded Spill
	v_add_f64_e32 v[0:1], v[64:65], v[165:166]
	scratch_store_b64 off, v[0:1], off offset:192 ; 8-byte Folded Spill
	v_add_f64_e32 v[0:1], v[66:67], v[127:128]
	scratch_store_b64 off, v[0:1], off offset:184 ; 8-byte Folded Spill
	v_add_f64_e32 v[0:1], v[64:65], v[155:156]
	scratch_store_b64 off, v[0:1], off offset:176 ; 8-byte Folded Spill
	v_add_f64_e32 v[0:1], v[66:67], v[8:9]
	v_mul_f64_e32 v[8:9], s[40:41], v[118:119]
	v_mul_f64_e32 v[66:67], s[44:45], v[98:99]
	scratch_store_b64 off, v[0:1], off offset:168 ; 8-byte Folded Spill
	v_fma_f64 v[4:5], v[70:71], s[22:23], v[8:9]
	v_add_f64_e32 v[0:1], v[64:65], v[10:11]
	v_mul_f64_e32 v[10:11], s[40:41], v[116:117]
	v_fma_f64 v[8:9], v[70:71], s[22:23], -v[8:9]
	s_delay_alu instid0(VALU_DEP_4) | instskip(SKIP_1) | instid1(VALU_DEP_4)
	v_add_f64_e32 v[4:5], v[4:5], v[14:15]
	v_mul_f64_e32 v[14:15], s[38:39], v[114:115]
	v_fma_f64 v[6:7], v[68:69], s[22:23], -v[10:11]
	v_fma_f64 v[10:11], v[68:69], s[22:23], v[10:11]
	v_add_f64_e32 v[8:9], v[8:9], v[157:158]
	scratch_store_b64 off, v[0:1], off offset:160 ; 8-byte Folded Spill
	v_fma_f64 v[123:124], v[80:81], s[8:9], v[14:15]
	v_add_f64_e32 v[6:7], v[6:7], v[129:130]
	v_add_f64_e32 v[10:11], v[10:11], v[12:13]
	v_fma_f64 v[12:13], v[80:81], s[8:9], -v[14:15]
	v_fma_f64 v[14:15], v[104:105], s[16:17], v[195:196]
	v_add_f64_e32 v[4:5], v[123:124], v[4:5]
	v_mul_f64_e32 v[123:124], s[38:39], v[74:75]
	s_delay_alu instid0(VALU_DEP_4) | instskip(NEXT) | instid1(VALU_DEP_2)
	v_add_f64_e32 v[8:9], v[12:13], v[8:9]
	v_fma_f64 v[125:126], v[72:73], s[8:9], -v[123:124]
	v_fma_f64 v[12:13], v[72:73], s[8:9], v[123:124]
	v_mul_f64_e32 v[123:124], s[44:45], v[118:119]
	s_delay_alu instid0(VALU_DEP_3) | instskip(SKIP_1) | instid1(VALU_DEP_4)
	v_add_f64_e32 v[6:7], v[125:126], v[6:7]
	v_mul_f64_e32 v[125:126], s[34:35], v[90:91]
	v_add_f64_e32 v[10:11], v[12:13], v[10:11]
	s_delay_alu instid0(VALU_DEP_2) | instskip(SKIP_2) | instid1(VALU_DEP_3)
	v_fma_f64 v[127:128], v[18:19], s[20:21], v[125:126]
	v_fma_f64 v[12:13], v[18:19], s[20:21], -v[125:126]
	v_mul_f64_e32 v[125:126], s[44:45], v[116:117]
	v_add_f64_e32 v[4:5], v[127:128], v[4:5]
	v_mul_f64_e32 v[127:128], s[34:35], v[82:83]
	s_delay_alu instid0(VALU_DEP_4) | instskip(NEXT) | instid1(VALU_DEP_2)
	v_add_f64_e32 v[8:9], v[12:13], v[8:9]
	v_fma_f64 v[129:130], v[16:17], s[20:21], -v[127:128]
	v_fma_f64 v[12:13], v[16:17], s[20:21], v[127:128]
	v_mul_f64_e32 v[127:128], s[42:43], v[114:115]
	s_delay_alu instid0(VALU_DEP_3) | instskip(SKIP_1) | instid1(VALU_DEP_4)
	v_add_f64_e32 v[6:7], v[129:130], v[6:7]
	v_mul_f64_e32 v[129:130], s[24:25], v[94:95]
	v_add_f64_e32 v[10:11], v[12:13], v[10:11]
	s_delay_alu instid0(VALU_DEP_2) | instskip(SKIP_3) | instid1(VALU_DEP_4)
	v_fma_f64 v[155:156], v[22:23], s[10:11], v[129:130]
	v_fma_f64 v[12:13], v[22:23], s[10:11], -v[129:130]
	v_fma_f64 v[129:130], v[80:81], s[16:17], v[127:128]
	v_fma_f64 v[127:128], v[80:81], s[16:17], -v[127:128]
	v_add_f64_e32 v[4:5], v[155:156], v[4:5]
	v_mul_f64_e32 v[155:156], s[24:25], v[88:89]
	v_add_f64_e32 v[8:9], v[12:13], v[8:9]
	s_delay_alu instid0(VALU_DEP_2) | instskip(SKIP_1) | instid1(VALU_DEP_2)
	v_fma_f64 v[171:172], v[20:21], s[10:11], -v[155:156]
	v_fma_f64 v[12:13], v[20:21], s[10:11], v[155:156]
	v_add_f64_e32 v[6:7], v[171:172], v[6:7]
	v_mul_f64_e32 v[171:172], s[44:45], v[112:113]
	s_delay_alu instid0(VALU_DEP_3) | instskip(NEXT) | instid1(VALU_DEP_2)
	v_add_f64_e32 v[10:11], v[12:13], v[10:11]
	v_fma_f64 v[185:186], v[86:87], s[18:19], v[171:172]
	v_fma_f64 v[12:13], v[86:87], s[18:19], -v[171:172]
	s_delay_alu instid0(VALU_DEP_2) | instskip(SKIP_1) | instid1(VALU_DEP_3)
	v_add_f64_e32 v[4:5], v[185:186], v[4:5]
	v_mul_f64_e32 v[185:186], s[44:45], v[92:93]
	v_add_f64_e32 v[8:9], v[12:13], v[8:9]
	s_mov_b32 s45, 0x3fc7851a
	s_mov_b32 s44, s30
	s_wait_alu 0xfffe
	v_mul_f64_e32 v[167:168], s[44:45], v[114:115]
	s_delay_alu instid0(VALU_DEP_3) | instskip(SKIP_1) | instid1(VALU_DEP_3)
	v_fma_f64 v[187:188], v[84:85], s[18:19], -v[185:186]
	v_fma_f64 v[12:13], v[84:85], s[18:19], v[185:186]
	v_fma_f64 v[139:140], v[80:81], s[6:7], -v[167:168]
	s_delay_alu instid0(VALU_DEP_3) | instskip(SKIP_1) | instid1(VALU_DEP_4)
	v_add_f64_e32 v[6:7], v[187:188], v[6:7]
	v_mul_f64_e32 v[187:188], s[46:47], v[102:103]
	v_add_f64_e32 v[10:11], v[12:13], v[10:11]
	s_delay_alu instid0(VALU_DEP_4) | instskip(NEXT) | instid1(VALU_DEP_3)
	v_add_f64_e32 v[26:27], v[139:140], v[26:27]
	v_fma_f64 v[189:190], v[100:101], s[14:15], v[187:188]
	v_fma_f64 v[12:13], v[100:101], s[14:15], -v[187:188]
	s_delay_alu instid0(VALU_DEP_2) | instskip(SKIP_1) | instid1(VALU_DEP_3)
	v_add_f64_e32 v[4:5], v[189:190], v[4:5]
	v_mul_f64_e32 v[189:190], s[46:47], v[98:99]
	v_add_f64_e32 v[8:9], v[12:13], v[8:9]
	s_delay_alu instid0(VALU_DEP_2) | instskip(SKIP_1) | instid1(VALU_DEP_2)
	v_fma_f64 v[12:13], v[96:97], s[14:15], v[189:190]
	v_fma_f64 v[191:192], v[96:97], s[14:15], -v[189:190]
	v_add_f64_e32 v[12:13], v[12:13], v[10:11]
	s_delay_alu instid0(VALU_DEP_2)
	v_add_f64_e32 v[191:192], v[191:192], v[6:7]
	v_fma_f64 v[6:7], v[108:109], s[16:17], v[193:194]
	v_fma_f64 v[10:11], v[108:109], s[16:17], -v[193:194]
	v_mul_f64_e32 v[193:194], s[46:47], v[110:111]
	v_add_f64_e32 v[179:180], v[14:15], v[12:13]
	v_fma_f64 v[12:13], v[70:71], s[18:19], v[123:124]
	v_fma_f64 v[14:15], v[68:69], s[18:19], -v[125:126]
	v_fma_f64 v[123:124], v[70:71], s[18:19], -v[123:124]
	v_fma_f64 v[125:126], v[68:69], s[18:19], v[125:126]
	v_add_f64_e32 v[2:3], v[6:7], v[4:5]
	v_fma_f64 v[4:5], v[104:105], s[16:17], -v[195:196]
	v_mul_f64_e32 v[195:196], s[46:47], v[106:107]
	s_mov_b32 s47, 0x3fe0d888
	s_mov_b32 s46, s38
	v_add_f64_e32 v[181:182], v[10:11], v[8:9]
	s_wait_alu 0xfffe
	v_mul_f64_e32 v[241:242], s[46:47], v[94:95]
	v_mul_f64_e32 v[243:244], s[46:47], v[88:89]
	;; [unrolled: 1-line block ×3, first 2 shown]
	v_add_f64_e32 v[12:13], v[12:13], v[131:132]
	v_add_f64_e32 v[14:15], v[14:15], v[159:160]
	v_add_f64_e32 v[123:124], v[123:124], v[173:174]
	v_add_f64_e32 v[125:126], v[125:126], v[145:146]
	v_mul_f64_e32 v[173:174], s[38:39], v[82:83]
	v_add_f64_e32 v[0:1], v[4:5], v[191:192]
	v_mul_f64_e32 v[4:5], s[38:39], v[92:93]
	v_add_f64_e32 v[12:13], v[129:130], v[12:13]
	;; [unrolled: 2-line block ×3, first 2 shown]
	scratch_store_b128 off, v[0:3], off offset:144 ; 16-byte Folded Spill
	v_mul_f64_e32 v[0:1], s[38:39], v[112:113]
	v_fma_f64 v[6:7], v[84:85], s[8:9], v[4:5]
	v_mul_f64_e32 v[2:3], s[50:51], v[98:99]
	v_fma_f64 v[4:5], v[84:85], s[8:9], -v[4:5]
	v_fma_f64 v[131:132], v[72:73], s[16:17], -v[129:130]
	v_fma_f64 v[127:128], v[72:73], s[16:17], v[129:130]
	v_fma_f64 v[129:130], v[104:105], s[14:15], v[195:196]
	;; [unrolled: 1-line block ×3, first 2 shown]
	v_fma_f64 v[2:3], v[96:97], s[10:11], -v[2:3]
	v_add_f64_e32 v[14:15], v[131:132], v[14:15]
	v_mul_f64_e32 v[131:132], s[50:51], v[90:91]
	v_add_f64_e32 v[125:126], v[127:128], v[125:126]
	s_delay_alu instid0(VALU_DEP_2) | instskip(SKIP_1) | instid1(VALU_DEP_2)
	v_fma_f64 v[155:156], v[18:19], s[10:11], v[131:132]
	v_fma_f64 v[127:128], v[18:19], s[10:11], -v[131:132]
	v_add_f64_e32 v[12:13], v[155:156], v[12:13]
	v_mul_f64_e32 v[155:156], s[50:51], v[82:83]
	s_delay_alu instid0(VALU_DEP_3) | instskip(NEXT) | instid1(VALU_DEP_2)
	v_add_f64_e32 v[123:124], v[127:128], v[123:124]
	v_fma_f64 v[157:158], v[16:17], s[10:11], -v[155:156]
	v_fma_f64 v[127:128], v[16:17], s[10:11], v[155:156]
	v_mul_f64_e32 v[155:156], s[52:53], v[118:119]
	s_delay_alu instid0(VALU_DEP_3) | instskip(SKIP_1) | instid1(VALU_DEP_4)
	v_add_f64_e32 v[14:15], v[157:158], v[14:15]
	v_mul_f64_e32 v[157:158], s[28:29], v[94:95]
	v_add_f64_e32 v[125:126], v[127:128], v[125:126]
	s_delay_alu instid0(VALU_DEP_2) | instskip(SKIP_2) | instid1(VALU_DEP_3)
	v_fma_f64 v[159:160], v[22:23], s[22:23], v[157:158]
	v_fma_f64 v[127:128], v[22:23], s[22:23], -v[157:158]
	v_mul_f64_e32 v[157:158], s[52:53], v[116:117]
	v_add_f64_e32 v[12:13], v[159:160], v[12:13]
	v_mul_f64_e32 v[159:160], s[28:29], v[88:89]
	s_delay_alu instid0(VALU_DEP_4) | instskip(NEXT) | instid1(VALU_DEP_2)
	v_add_f64_e32 v[123:124], v[127:128], v[123:124]
	v_fma_f64 v[171:172], v[20:21], s[22:23], -v[159:160]
	v_fma_f64 v[127:128], v[20:21], s[22:23], v[159:160]
	v_mul_f64_e32 v[159:160], s[28:29], v[114:115]
	s_delay_alu instid0(VALU_DEP_3) | instskip(SKIP_1) | instid1(VALU_DEP_4)
	v_add_f64_e32 v[14:15], v[171:172], v[14:15]
	v_mul_f64_e32 v[171:172], s[30:31], v[112:113]
	v_add_f64_e32 v[125:126], v[127:128], v[125:126]
	s_delay_alu instid0(VALU_DEP_4) | instskip(NEXT) | instid1(VALU_DEP_3)
	v_fma_f64 v[131:132], v[80:81], s[22:23], v[159:160]
	v_fma_f64 v[185:186], v[86:87], s[6:7], v[171:172]
	v_fma_f64 v[127:128], v[86:87], s[6:7], -v[171:172]
	v_mul_f64_e32 v[171:172], s[38:39], v[90:91]
	s_delay_alu instid0(VALU_DEP_3) | instskip(SKIP_1) | instid1(VALU_DEP_4)
	v_add_f64_e32 v[12:13], v[185:186], v[12:13]
	v_mul_f64_e32 v[185:186], s[30:31], v[92:93]
	v_add_f64_e32 v[123:124], v[127:128], v[123:124]
	s_delay_alu instid0(VALU_DEP_2) | instskip(SKIP_2) | instid1(VALU_DEP_3)
	v_fma_f64 v[187:188], v[84:85], s[6:7], -v[185:186]
	v_fma_f64 v[127:128], v[84:85], s[6:7], v[185:186]
	v_mul_f64_e32 v[185:186], s[26:27], v[94:95]
	v_add_f64_e32 v[14:15], v[187:188], v[14:15]
	v_mul_f64_e32 v[187:188], s[34:35], v[102:103]
	s_delay_alu instid0(VALU_DEP_4) | instskip(NEXT) | instid1(VALU_DEP_2)
	v_add_f64_e32 v[125:126], v[127:128], v[125:126]
	v_fma_f64 v[189:190], v[100:101], s[20:21], v[187:188]
	v_fma_f64 v[127:128], v[100:101], s[20:21], -v[187:188]
	v_mul_f64_e32 v[187:188], s[26:27], v[88:89]
	s_delay_alu instid0(VALU_DEP_3) | instskip(SKIP_1) | instid1(VALU_DEP_4)
	v_add_f64_e32 v[12:13], v[189:190], v[12:13]
	v_mul_f64_e32 v[189:190], s[34:35], v[98:99]
	v_add_f64_e32 v[123:124], v[127:128], v[123:124]
	s_delay_alu instid0(VALU_DEP_2) | instskip(SKIP_2) | instid1(VALU_DEP_3)
	v_fma_f64 v[127:128], v[96:97], s[20:21], v[189:190]
	v_fma_f64 v[191:192], v[96:97], s[20:21], -v[189:190]
	v_mul_f64_e32 v[189:190], s[48:49], v[112:113]
	v_add_f64_e32 v[127:128], v[127:128], v[125:126]
	s_delay_alu instid0(VALU_DEP_3)
	v_add_f64_e32 v[191:192], v[191:192], v[14:15]
	v_fma_f64 v[14:15], v[108:109], s[14:15], v[193:194]
	v_fma_f64 v[125:126], v[108:109], s[14:15], -v[193:194]
	v_mul_f64_e32 v[193:194], s[30:31], v[102:103]
	v_add_f64_e32 v[163:164], v[129:130], v[127:128]
	v_fma_f64 v[127:128], v[70:71], s[14:15], v[155:156]
	v_fma_f64 v[129:130], v[68:69], s[14:15], -v[157:158]
	v_add_f64_e32 v[177:178], v[14:15], v[12:13]
	v_fma_f64 v[12:13], v[104:105], s[14:15], -v[195:196]
	v_mul_f64_e32 v[195:196], s[30:31], v[98:99]
	v_add_f64_e32 v[165:166], v[125:126], v[123:124]
	v_mul_f64_e32 v[122:123], s[52:53], v[92:93]
	v_mul_f64_e32 v[124:125], s[40:41], v[110:111]
	;; [unrolled: 1-line block ×3, first 2 shown]
	v_add_f64_e32 v[127:128], v[127:128], v[133:134]
	v_add_f64_e32 v[129:130], v[129:130], v[161:162]
	v_mul_f64_e32 v[161:162], s[28:29], v[74:75]
	v_add_f64_e32 v[175:176], v[12:13], v[191:192]
	v_mul_f64_e32 v[191:192], s[48:49], v[92:93]
	v_fma_f64 v[133:134], v[68:69], s[20:21], v[203:204]
	v_dual_mov_b32 v12, v32 :: v_dual_mov_b32 v13, v33
	v_dual_mov_b32 v14, v34 :: v_dual_mov_b32 v15, v35
	v_mul_f64_e32 v[32:33], s[44:45], v[74:75]
	v_mul_f64_e32 v[74:75], s[34:35], v[74:75]
	;; [unrolled: 1-line block ×3, first 2 shown]
	v_add_f64_e32 v[127:128], v[131:132], v[127:128]
	v_fma_f64 v[131:132], v[72:73], s[22:23], -v[161:162]
	v_add_f64_e32 v[133:134], v[133:134], v[141:142]
	v_fma_f64 v[141:142], v[80:81], s[10:11], -v[233:234]
	v_fma_f64 v[34:35], v[72:73], s[6:7], v[32:33]
	s_delay_alu instid0(VALU_DEP_4) | instskip(SKIP_1) | instid1(VALU_DEP_3)
	v_add_f64_e32 v[129:130], v[131:132], v[129:130]
	v_fma_f64 v[131:132], v[18:19], s[8:9], v[171:172]
	v_add_f64_e32 v[30:31], v[34:35], v[30:31]
	v_mul_f64_e32 v[34:35], s[52:53], v[90:91]
	s_delay_alu instid0(VALU_DEP_3) | instskip(SKIP_1) | instid1(VALU_DEP_4)
	v_add_f64_e32 v[127:128], v[131:132], v[127:128]
	v_fma_f64 v[131:132], v[16:17], s[8:9], -v[173:174]
	v_add_f64_e32 v[30:31], v[38:39], v[30:31]
	s_delay_alu instid0(VALU_DEP_4) | instskip(SKIP_1) | instid1(VALU_DEP_4)
	v_fma_f64 v[139:140], v[18:19], s[14:15], -v[34:35]
	v_mul_f64_e32 v[38:39], s[34:35], v[94:95]
	v_add_f64_e32 v[129:130], v[131:132], v[129:130]
	v_fma_f64 v[131:132], v[22:23], s[16:17], v[185:186]
	v_add_f64_e32 v[30:31], v[42:43], v[30:31]
	v_add_f64_e32 v[26:27], v[139:140], v[26:27]
	v_fma_f64 v[139:140], v[22:23], s[20:21], -v[38:39]
	v_mul_f64_e32 v[42:43], s[28:29], v[112:113]
	v_mul_f64_e32 v[112:113], s[26:27], v[112:113]
	v_add_f64_e32 v[127:128], v[131:132], v[127:128]
	v_fma_f64 v[131:132], v[20:21], s[16:17], -v[187:188]
	v_add_f64_e32 v[30:31], v[46:47], v[30:31]
	v_mul_f64_e32 v[46:47], s[42:43], v[102:103]
	v_add_f64_e32 v[26:27], v[139:140], v[26:27]
	v_fma_f64 v[139:140], v[86:87], s[22:23], -v[42:43]
	v_add_f64_e32 v[129:130], v[131:132], v[129:130]
	v_fma_f64 v[131:132], v[86:87], s[20:21], v[189:190]
	v_add_f64_e32 v[30:31], v[50:51], v[30:31]
	v_mul_f64_e32 v[50:51], s[38:39], v[110:111]
	v_add_f64_e32 v[26:27], v[139:140], v[26:27]
	v_fma_f64 v[139:140], v[100:101], s[16:17], -v[46:47]
	v_add_f64_e32 v[127:128], v[131:132], v[127:128]
	v_fma_f64 v[131:132], v[84:85], s[20:21], -v[191:192]
	s_delay_alu instid0(VALU_DEP_3) | instskip(SKIP_1) | instid1(VALU_DEP_3)
	v_add_f64_e32 v[26:27], v[139:140], v[26:27]
	v_fma_f64 v[139:140], v[108:109], s[8:9], -v[50:51]
	v_add_f64_e32 v[129:130], v[131:132], v[129:130]
	v_fma_f64 v[131:132], v[100:101], s[6:7], v[193:194]
	s_delay_alu instid0(VALU_DEP_1) | instskip(SKIP_1) | instid1(VALU_DEP_1)
	v_add_f64_e32 v[127:128], v[131:132], v[127:128]
	v_fma_f64 v[131:132], v[96:97], s[6:7], -v[195:196]
	v_add_f64_e32 v[131:132], v[131:132], v[129:130]
	v_fma_f64 v[129:130], v[108:109], s[18:19], v[197:198]
	s_delay_alu instid0(VALU_DEP_1) | instskip(SKIP_1) | instid1(VALU_DEP_1)
	v_add_f64_e32 v[129:130], v[129:130], v[127:128]
	v_fma_f64 v[127:128], v[104:105], s[18:19], -v[199:200]
	v_add_f64_e32 v[127:128], v[127:128], v[131:132]
	v_fma_f64 v[131:132], v[70:71], s[20:21], -v[201:202]
	s_delay_alu instid0(VALU_DEP_1) | instskip(SKIP_1) | instid1(VALU_DEP_1)
	v_add_f64_e32 v[131:132], v[131:132], v[137:138]
	v_fma_f64 v[137:138], v[80:81], s[18:19], -v[205:206]
	v_add_f64_e32 v[131:132], v[137:138], v[131:132]
	v_fma_f64 v[137:138], v[72:73], s[18:19], v[207:208]
	s_delay_alu instid0(VALU_DEP_1) | instskip(SKIP_1) | instid1(VALU_DEP_1)
	v_add_f64_e32 v[133:134], v[137:138], v[133:134]
	v_fma_f64 v[137:138], v[18:19], s[16:17], -v[209:210]
	v_add_f64_e32 v[131:132], v[137:138], v[131:132]
	v_fma_f64 v[137:138], v[16:17], s[16:17], v[211:212]
	;; [unrolled: 5-line block ×7, first 2 shown]
	s_delay_alu instid0(VALU_DEP_2) | instskip(NEXT) | instid1(VALU_DEP_2)
	v_add_f64_e32 v[135:136], v[141:142], v[135:136]
	v_add_f64_e32 v[137:138], v[137:138], v[143:144]
	v_fma_f64 v[141:142], v[72:73], s[10:11], v[235:236]
	s_delay_alu instid0(VALU_DEP_1) | instskip(SKIP_1) | instid1(VALU_DEP_1)
	v_add_f64_e32 v[137:138], v[141:142], v[137:138]
	v_fma_f64 v[141:142], v[18:19], s[6:7], -v[237:238]
	v_add_f64_e32 v[135:136], v[141:142], v[135:136]
	v_fma_f64 v[141:142], v[16:17], s[6:7], v[239:240]
	s_delay_alu instid0(VALU_DEP_1) | instskip(SKIP_1) | instid1(VALU_DEP_1)
	v_add_f64_e32 v[137:138], v[141:142], v[137:138]
	v_fma_f64 v[141:142], v[22:23], s[8:9], -v[241:242]
	;; [unrolled: 5-line block ×5, first 2 shown]
	v_add_f64_e32 v[137:138], v[137:138], v[135:136]
	v_fma_f64 v[135:136], v[104:105], s[22:23], v[8:9]
	s_delay_alu instid0(VALU_DEP_1) | instskip(SKIP_2) | instid1(VALU_DEP_1)
	v_add_f64_e32 v[135:136], v[135:136], v[141:142]
	v_add_f64_e32 v[141:142], v[139:140], v[26:27]
	v_mul_f64_e32 v[26:27], s[38:39], v[106:107]
	v_fma_f64 v[139:140], v[104:105], s[8:9], v[26:27]
	s_delay_alu instid0(VALU_DEP_1) | instskip(SKIP_1) | instid1(VALU_DEP_1)
	v_add_f64_e32 v[139:140], v[139:140], v[30:31]
	v_mul_f64_e32 v[30:31], s[30:31], v[118:119]
	v_fma_f64 v[143:144], v[70:71], s[6:7], -v[30:31]
	s_delay_alu instid0(VALU_DEP_1) | instskip(SKIP_2) | instid1(VALU_DEP_2)
	v_add_f64_e32 v[143:144], v[143:144], v[183:184]
	v_mul_f64_e32 v[183:184], s[30:31], v[116:117]
	v_mul_f64_e32 v[116:117], s[46:47], v[116:117]
	v_fma_f64 v[145:146], v[68:69], s[6:7], v[183:184]
	s_delay_alu instid0(VALU_DEP_1) | instskip(SKIP_2) | instid1(VALU_DEP_3)
	v_add_f64_e32 v[145:146], v[145:146], v[151:152]
	v_mul_f64_e32 v[151:152], s[52:53], v[114:115]
	v_mul_f64_e32 v[114:115], s[34:35], v[114:115]
	v_add_f64_e32 v[54:55], v[54:55], v[145:146]
	s_delay_alu instid0(VALU_DEP_3) | instskip(NEXT) | instid1(VALU_DEP_1)
	v_fma_f64 v[64:65], v[80:81], s[14:15], -v[151:152]
	v_add_f64_e32 v[64:65], v[64:65], v[143:144]
	s_delay_alu instid0(VALU_DEP_1) | instskip(SKIP_2) | instid1(VALU_DEP_3)
	v_add_f64_e32 v[58:59], v[58:59], v[64:65]
	v_mul_f64_e32 v[64:65], s[40:41], v[82:83]
	v_mul_f64_e32 v[82:83], s[36:37], v[82:83]
	v_add_f64_e32 v[58:59], v[62:63], v[58:59]
	s_delay_alu instid0(VALU_DEP_3) | instskip(SKIP_1) | instid1(VALU_DEP_2)
	v_fma_f64 v[143:144], v[16:17], s[22:23], v[64:65]
	v_mul_f64_e32 v[62:63], s[36:37], v[88:89]
	v_add_f64_e32 v[54:55], v[143:144], v[54:55]
	s_delay_alu instid0(VALU_DEP_2) | instskip(NEXT) | instid1(VALU_DEP_1)
	v_fma_f64 v[143:144], v[20:21], s[18:19], v[62:63]
	v_add_f64_e32 v[54:55], v[143:144], v[54:55]
	v_fma_f64 v[143:144], v[86:87], s[8:9], -v[0:1]
	v_fma_f64 v[0:1], v[86:87], s[8:9], v[0:1]
	s_delay_alu instid0(VALU_DEP_3) | instskip(SKIP_1) | instid1(VALU_DEP_4)
	v_add_f64_e32 v[6:7], v[6:7], v[54:55]
	v_mul_f64_e32 v[54:55], s[50:51], v[102:103]
	v_add_f64_e32 v[58:59], v[143:144], v[58:59]
	v_mul_f64_e32 v[102:103], s[28:29], v[102:103]
	s_delay_alu instid0(VALU_DEP_4) | instskip(NEXT) | instid1(VALU_DEP_4)
	v_add_f64_e32 v[6:7], v[10:11], v[6:7]
	v_fma_f64 v[143:144], v[100:101], s[10:11], -v[54:55]
	v_mul_f64_e32 v[10:11], s[34:35], v[110:111]
	v_mul_f64_e32 v[110:111], s[24:25], v[110:111]
	s_delay_alu instid0(VALU_DEP_3) | instskip(NEXT) | instid1(VALU_DEP_3)
	v_add_f64_e32 v[58:59], v[143:144], v[58:59]
	v_fma_f64 v[143:144], v[108:109], s[20:21], -v[10:11]
	s_delay_alu instid0(VALU_DEP_1) | instskip(SKIP_2) | instid1(VALU_DEP_2)
	v_add_f64_e32 v[145:146], v[143:144], v[58:59]
	v_mul_f64_e32 v[58:59], s[34:35], v[106:107]
	v_mul_f64_e32 v[106:107], s[24:25], v[106:107]
	v_fma_f64 v[143:144], v[104:105], s[20:21], v[58:59]
	s_delay_alu instid0(VALU_DEP_1) | instskip(SKIP_1) | instid1(VALU_DEP_1)
	v_add_f64_e32 v[143:144], v[143:144], v[6:7]
	v_mul_f64_e32 v[6:7], s[46:47], v[118:119]
	v_fma_f64 v[118:119], v[70:71], s[8:9], -v[6:7]
	v_fma_f64 v[6:7], v[70:71], s[8:9], v[6:7]
	s_delay_alu instid0(VALU_DEP_2) | instskip(SKIP_1) | instid1(VALU_DEP_1)
	v_add_f64_e32 v[76:77], v[118:119], v[76:77]
	v_fma_f64 v[118:119], v[68:69], s[8:9], v[116:117]
	v_add_f64_e32 v[118:119], v[118:119], v[149:150]
	v_fma_f64 v[149:150], v[80:81], s[20:21], -v[114:115]
	v_fma_f64 v[114:115], v[80:81], s[20:21], v[114:115]
	s_delay_alu instid0(VALU_DEP_2) | instskip(SKIP_2) | instid1(VALU_DEP_2)
	v_add_f64_e32 v[76:77], v[149:150], v[76:77]
	v_fma_f64 v[149:150], v[72:73], s[20:21], v[74:75]
	v_fma_f64 v[74:75], v[72:73], s[20:21], -v[74:75]
	v_add_f64_e32 v[118:119], v[149:150], v[118:119]
	v_mul_f64_e32 v[149:150], s[36:37], v[90:91]
	s_delay_alu instid0(VALU_DEP_1) | instskip(NEXT) | instid1(VALU_DEP_1)
	v_fma_f64 v[90:91], v[18:19], s[18:19], -v[149:150]
	v_add_f64_e32 v[76:77], v[90:91], v[76:77]
	v_fma_f64 v[90:91], v[16:17], s[18:19], v[82:83]
	s_delay_alu instid0(VALU_DEP_1) | instskip(SKIP_1) | instid1(VALU_DEP_1)
	v_add_f64_e32 v[90:91], v[90:91], v[118:119]
	v_mul_f64_e32 v[118:119], s[30:31], v[94:95]
	v_fma_f64 v[94:95], v[22:23], s[6:7], -v[118:119]
	s_delay_alu instid0(VALU_DEP_1) | instskip(SKIP_1) | instid1(VALU_DEP_1)
	v_add_f64_e32 v[76:77], v[94:95], v[76:77]
	v_mul_f64_e32 v[94:95], s[30:31], v[88:89]
	v_fma_f64 v[88:89], v[20:21], s[6:7], v[94:95]
	s_delay_alu instid0(VALU_DEP_1) | instskip(SKIP_1) | instid1(VALU_DEP_1)
	v_add_f64_e32 v[88:89], v[88:89], v[90:91]
	v_fma_f64 v[90:91], v[86:87], s[16:17], -v[112:113]
	v_add_f64_e32 v[76:77], v[90:91], v[76:77]
	v_fma_f64 v[90:91], v[84:85], s[16:17], v[92:93]
	s_delay_alu instid0(VALU_DEP_1) | instskip(SKIP_1) | instid1(VALU_DEP_1)
	v_add_f64_e32 v[88:89], v[90:91], v[88:89]
	v_fma_f64 v[90:91], v[100:101], s[22:23], -v[102:103]
	v_add_f64_e32 v[76:77], v[90:91], v[76:77]
	;; [unrolled: 5-line block ×3, first 2 shown]
	v_fma_f64 v[76:77], v[104:105], s[10:11], v[106:107]
	s_delay_alu instid0(VALU_DEP_1)
	v_add_f64_e32 v[88:89], v[76:77], v[88:89]
	v_fma_f64 v[76:77], v[70:71], s[14:15], -v[155:156]
	scratch_load_b64 v[155:156], off, off offset:224 th:TH_LOAD_LU ; 8-byte Folded Reload
	s_wait_loadcnt 0x0
	v_add_f64_e32 v[76:77], v[76:77], v[155:156]
	v_fma_f64 v[155:156], v[68:69], s[14:15], v[157:158]
	s_delay_alu instid0(VALU_DEP_1) | instskip(SKIP_2) | instid1(VALU_DEP_2)
	v_add_f64_e32 v[147:148], v[155:156], v[147:148]
	v_fma_f64 v[155:156], v[80:81], s[22:23], -v[159:160]
	v_fma_f64 v[159:160], v[104:105], s[18:19], v[199:200]
	v_add_f64_e32 v[76:77], v[155:156], v[76:77]
	v_fma_f64 v[155:156], v[72:73], s[22:23], v[161:162]
	s_delay_alu instid0(VALU_DEP_1) | instskip(SKIP_1) | instid1(VALU_DEP_1)
	v_add_f64_e32 v[147:148], v[155:156], v[147:148]
	v_fma_f64 v[155:156], v[18:19], s[8:9], -v[171:172]
	v_add_f64_e32 v[76:77], v[155:156], v[76:77]
	v_fma_f64 v[155:156], v[16:17], s[8:9], v[173:174]
	s_delay_alu instid0(VALU_DEP_1) | instskip(SKIP_1) | instid1(VALU_DEP_1)
	v_add_f64_e32 v[147:148], v[155:156], v[147:148]
	v_fma_f64 v[155:156], v[22:23], s[16:17], -v[185:186]
	v_add_f64_e32 v[76:77], v[155:156], v[76:77]
	v_fma_f64 v[155:156], v[20:21], s[16:17], v[187:188]
	s_delay_alu instid0(VALU_DEP_1) | instskip(SKIP_1) | instid1(VALU_DEP_1)
	v_add_f64_e32 v[147:148], v[155:156], v[147:148]
	v_fma_f64 v[155:156], v[86:87], s[20:21], -v[189:190]
	v_add_f64_e32 v[76:77], v[155:156], v[76:77]
	v_fma_f64 v[155:156], v[84:85], s[20:21], v[191:192]
	s_delay_alu instid0(VALU_DEP_1) | instskip(SKIP_1) | instid1(VALU_DEP_1)
	v_add_f64_e32 v[147:148], v[155:156], v[147:148]
	v_fma_f64 v[155:156], v[100:101], s[6:7], -v[193:194]
	v_add_f64_e32 v[76:77], v[155:156], v[76:77]
	v_fma_f64 v[155:156], v[96:97], s[6:7], v[195:196]
	s_delay_alu instid0(VALU_DEP_1) | instskip(SKIP_1) | instid1(VALU_DEP_1)
	v_add_f64_e32 v[147:148], v[155:156], v[147:148]
	v_fma_f64 v[155:156], v[108:109], s[18:19], -v[197:198]
	v_add_f64_e32 v[157:158], v[155:156], v[76:77]
	scratch_load_b64 v[76:77], off, off offset:216 th:TH_LOAD_LU ; 8-byte Folded Reload
	v_add_f64_e32 v[155:156], v[159:160], v[147:148]
	s_wait_loadcnt 0x0
	v_add_f64_e32 v[6:7], v[6:7], v[76:77]
	v_fma_f64 v[76:77], v[68:69], s[8:9], -v[116:117]
	scratch_load_b64 v[116:117], off, off offset:208 th:TH_LOAD_LU ; 8-byte Folded Reload
	v_add_f64_e32 v[6:7], v[114:115], v[6:7]
	s_wait_loadcnt 0x0
	v_add_f64_e32 v[76:77], v[76:77], v[116:117]
	s_delay_alu instid0(VALU_DEP_1) | instskip(SKIP_1) | instid1(VALU_DEP_1)
	v_add_f64_e32 v[74:75], v[74:75], v[76:77]
	v_fma_f64 v[76:77], v[18:19], s[18:19], v[149:150]
	v_add_f64_e32 v[6:7], v[76:77], v[6:7]
	v_fma_f64 v[76:77], v[16:17], s[18:19], -v[82:83]
	v_fma_f64 v[82:83], v[104:105], s[10:11], -v[106:107]
	s_delay_alu instid0(VALU_DEP_2) | instskip(SKIP_1) | instid1(VALU_DEP_1)
	v_add_f64_e32 v[74:75], v[76:77], v[74:75]
	v_fma_f64 v[76:77], v[22:23], s[6:7], v[118:119]
	v_add_f64_e32 v[6:7], v[76:77], v[6:7]
	v_fma_f64 v[76:77], v[20:21], s[6:7], -v[94:95]
	s_delay_alu instid0(VALU_DEP_1) | instskip(SKIP_1) | instid1(VALU_DEP_1)
	v_add_f64_e32 v[74:75], v[76:77], v[74:75]
	v_fma_f64 v[76:77], v[86:87], s[16:17], v[112:113]
	v_add_f64_e32 v[6:7], v[76:77], v[6:7]
	v_fma_f64 v[76:77], v[84:85], s[16:17], -v[92:93]
	s_delay_alu instid0(VALU_DEP_1) | instskip(SKIP_1) | instid1(VALU_DEP_1)
	v_add_f64_e32 v[74:75], v[76:77], v[74:75]
	v_fma_f64 v[76:77], v[100:101], s[22:23], v[102:103]
	v_add_f64_e32 v[6:7], v[76:77], v[6:7]
	v_fma_f64 v[76:77], v[96:97], s[22:23], -v[98:99]
	s_delay_alu instid0(VALU_DEP_1) | instskip(SKIP_1) | instid1(VALU_DEP_2)
	v_add_f64_e32 v[74:75], v[76:77], v[74:75]
	v_fma_f64 v[76:77], v[108:109], s[10:11], v[110:111]
	v_add_f64_e32 v[110:111], v[82:83], v[74:75]
	s_delay_alu instid0(VALU_DEP_2)
	v_add_f64_e32 v[112:113], v[76:77], v[6:7]
	v_fma_f64 v[6:7], v[70:71], s[6:7], v[30:31]
	scratch_load_b64 v[30:31], off, off offset:200 th:TH_LOAD_LU ; 8-byte Folded Reload
	s_wait_loadcnt 0x0
	v_add_f64_e32 v[6:7], v[6:7], v[30:31]
	v_fma_f64 v[30:31], v[80:81], s[14:15], v[151:152]
	s_delay_alu instid0(VALU_DEP_1) | instskip(SKIP_1) | instid1(VALU_DEP_1)
	v_add_f64_e32 v[6:7], v[30:31], v[6:7]
	v_fma_f64 v[30:31], v[18:19], s[22:23], v[56:57]
	v_add_f64_e32 v[6:7], v[30:31], v[6:7]
	v_fma_f64 v[30:31], v[22:23], s[18:19], v[60:61]
	s_delay_alu instid0(VALU_DEP_1) | instskip(SKIP_4) | instid1(VALU_DEP_1)
	v_add_f64_e32 v[6:7], v[30:31], v[6:7]
	scratch_load_b64 v[30:31], off, off offset:192 th:TH_LOAD_LU ; 8-byte Folded Reload
	v_add_f64_e32 v[0:1], v[0:1], v[6:7]
	v_fma_f64 v[6:7], v[68:69], s[6:7], -v[183:184]
	s_wait_loadcnt 0x0
	v_add_f64_e32 v[6:7], v[6:7], v[30:31]
	v_fma_f64 v[30:31], v[72:73], s[14:15], -v[52:53]
	s_delay_alu instid0(VALU_DEP_1) | instskip(SKIP_1) | instid1(VALU_DEP_1)
	v_add_f64_e32 v[6:7], v[30:31], v[6:7]
	v_fma_f64 v[30:31], v[16:17], s[22:23], -v[64:65]
	v_add_f64_e32 v[6:7], v[30:31], v[6:7]
	v_fma_f64 v[30:31], v[20:21], s[18:19], -v[62:63]
	s_delay_alu instid0(VALU_DEP_1) | instskip(NEXT) | instid1(VALU_DEP_1)
	v_add_f64_e32 v[6:7], v[30:31], v[6:7]
	v_add_f64_e32 v[4:5], v[4:5], v[6:7]
	v_fma_f64 v[6:7], v[100:101], s[10:11], v[54:55]
	s_delay_alu instid0(VALU_DEP_2) | instskip(NEXT) | instid1(VALU_DEP_2)
	v_add_f64_e32 v[2:3], v[2:3], v[4:5]
	v_add_f64_e32 v[0:1], v[6:7], v[0:1]
	v_fma_f64 v[4:5], v[108:109], s[20:21], v[10:11]
	v_fma_f64 v[6:7], v[104:105], s[20:21], -v[58:59]
	s_delay_alu instid0(VALU_DEP_2) | instskip(SKIP_1) | instid1(VALU_DEP_3)
	v_add_f64_e32 v[116:117], v[4:5], v[0:1]
	v_fma_f64 v[0:1], v[70:71], s[10:11], v[24:25]
	v_add_f64_e32 v[114:115], v[6:7], v[2:3]
	v_fma_f64 v[2:3], v[68:69], s[10:11], -v[28:29]
	v_fma_f64 v[4:5], v[80:81], s[6:7], v[167:168]
	v_fma_f64 v[6:7], v[104:105], s[8:9], -v[26:27]
	v_add_f64_e32 v[0:1], v[0:1], v[169:170]
	s_delay_alu instid0(VALU_DEP_4) | instskip(NEXT) | instid1(VALU_DEP_2)
	v_add_f64_e32 v[2:3], v[2:3], v[153:154]
	v_add_f64_e32 v[0:1], v[4:5], v[0:1]
	v_fma_f64 v[4:5], v[72:73], s[6:7], -v[32:33]
	s_delay_alu instid0(VALU_DEP_1) | instskip(SKIP_3) | instid1(VALU_DEP_3)
	v_add_f64_e32 v[2:3], v[4:5], v[2:3]
	v_fma_f64 v[4:5], v[18:19], s[14:15], v[34:35]
	v_dual_mov_b32 v35, v15 :: v_dual_mov_b32 v34, v14
	v_dual_mov_b32 v33, v13 :: v_dual_mov_b32 v32, v12
	v_add_f64_e32 v[0:1], v[4:5], v[0:1]
	v_fma_f64 v[4:5], v[16:17], s[14:15], -v[36:37]
	s_delay_alu instid0(VALU_DEP_1) | instskip(SKIP_1) | instid1(VALU_DEP_1)
	v_add_f64_e32 v[2:3], v[4:5], v[2:3]
	v_fma_f64 v[4:5], v[22:23], s[20:21], v[38:39]
	v_add_f64_e32 v[0:1], v[4:5], v[0:1]
	v_fma_f64 v[4:5], v[20:21], s[20:21], -v[40:41]
	s_delay_alu instid0(VALU_DEP_1) | instskip(SKIP_1) | instid1(VALU_DEP_1)
	v_add_f64_e32 v[2:3], v[4:5], v[2:3]
	v_fma_f64 v[4:5], v[86:87], s[22:23], v[42:43]
	v_add_f64_e32 v[0:1], v[4:5], v[0:1]
	v_fma_f64 v[4:5], v[84:85], s[22:23], -v[44:45]
	s_delay_alu instid0(VALU_DEP_1) | instskip(SKIP_1) | instid1(VALU_DEP_1)
	v_add_f64_e32 v[2:3], v[4:5], v[2:3]
	v_fma_f64 v[4:5], v[100:101], s[16:17], v[46:47]
	v_add_f64_e32 v[0:1], v[4:5], v[0:1]
	v_fma_f64 v[4:5], v[96:97], s[16:17], -v[48:49]
	s_delay_alu instid0(VALU_DEP_1) | instskip(SKIP_1) | instid1(VALU_DEP_2)
	v_add_f64_e32 v[2:3], v[4:5], v[2:3]
	v_fma_f64 v[4:5], v[108:109], s[8:9], v[50:51]
	v_add_f64_e32 v[147:148], v[6:7], v[2:3]
	scratch_load_b64 v[2:3], off, off offset:184 th:TH_LOAD_LU ; 8-byte Folded Reload
	v_add_f64_e32 v[149:150], v[4:5], v[0:1]
	scratch_load_b64 v[4:5], off, off offset:176 th:TH_LOAD_LU ; 8-byte Folded Reload
	v_fma_f64 v[0:1], v[70:71], s[16:17], v[229:230]
	v_fma_f64 v[6:7], v[104:105], s[22:23], -v[8:9]
	scratch_load_b64 v[8:9], off, off offset:160 th:TH_LOAD_LU ; 8-byte Folded Reload
	s_wait_loadcnt 0x2
	v_add_f64_e32 v[0:1], v[0:1], v[2:3]
	v_fma_f64 v[2:3], v[68:69], s[16:17], -v[231:232]
	s_wait_loadcnt 0x1
	s_delay_alu instid0(VALU_DEP_1) | instskip(SKIP_1) | instid1(VALU_DEP_1)
	v_add_f64_e32 v[2:3], v[2:3], v[4:5]
	v_fma_f64 v[4:5], v[80:81], s[10:11], v[233:234]
	v_add_f64_e32 v[0:1], v[4:5], v[0:1]
	v_fma_f64 v[4:5], v[72:73], s[10:11], -v[235:236]
	s_delay_alu instid0(VALU_DEP_1) | instskip(SKIP_1) | instid1(VALU_DEP_1)
	v_add_f64_e32 v[2:3], v[4:5], v[2:3]
	v_fma_f64 v[4:5], v[18:19], s[6:7], v[237:238]
	v_add_f64_e32 v[0:1], v[4:5], v[0:1]
	v_fma_f64 v[4:5], v[16:17], s[6:7], -v[239:240]
	;; [unrolled: 5-line block ×5, first 2 shown]
	s_delay_alu instid0(VALU_DEP_1) | instskip(SKIP_1) | instid1(VALU_DEP_2)
	v_add_f64_e32 v[2:3], v[4:5], v[2:3]
	v_fma_f64 v[4:5], v[108:109], s[22:23], v[124:125]
	v_add_f64_e32 v[74:75], v[6:7], v[2:3]
	scratch_load_b64 v[6:7], off, off offset:168 th:TH_LOAD_LU ; 8-byte Folded Reload
	v_add_f64_e32 v[76:77], v[4:5], v[0:1]
	v_fma_f64 v[0:1], v[70:71], s[20:21], v[201:202]
	v_fma_f64 v[2:3], v[68:69], s[20:21], -v[203:204]
	v_fma_f64 v[4:5], v[80:81], s[18:19], v[205:206]
	s_wait_loadcnt 0x1
	s_delay_alu instid0(VALU_DEP_2) | instskip(SKIP_4) | instid1(VALU_DEP_2)
	v_add_f64_e32 v[2:3], v[2:3], v[8:9]
	v_fma_f64 v[8:9], v[18:19], s[16:17], v[209:210]
	s_wait_loadcnt 0x0
	v_add_f64_e32 v[0:1], v[0:1], v[6:7]
	v_fma_f64 v[6:7], v[72:73], s[18:19], -v[207:208]
	v_add_f64_e32 v[0:1], v[4:5], v[0:1]
	v_fma_f64 v[4:5], v[16:17], s[16:17], -v[211:212]
	s_delay_alu instid0(VALU_DEP_3) | instskip(SKIP_1) | instid1(VALU_DEP_4)
	v_add_f64_e32 v[2:3], v[6:7], v[2:3]
	v_fma_f64 v[6:7], v[22:23], s[14:15], v[213:214]
	v_add_f64_e32 v[0:1], v[8:9], v[0:1]
	v_fma_f64 v[8:9], v[20:21], s[14:15], -v[215:216]
	s_delay_alu instid0(VALU_DEP_4) | instskip(SKIP_1) | instid1(VALU_DEP_4)
	v_add_f64_e32 v[2:3], v[4:5], v[2:3]
	v_fma_f64 v[4:5], v[86:87], s[10:11], v[217:218]
	v_add_f64_e32 v[0:1], v[6:7], v[0:1]
	v_fma_f64 v[6:7], v[84:85], s[10:11], -v[219:220]
	s_delay_alu instid0(VALU_DEP_4) | instskip(SKIP_1) | instid1(VALU_DEP_4)
	;; [unrolled: 5-line block ×3, first 2 shown]
	v_add_f64_e32 v[2:3], v[6:7], v[2:3]
	v_fma_f64 v[6:7], v[108:109], s[6:7], v[225:226]
	v_add_f64_e32 v[0:1], v[8:9], v[0:1]
	v_fma_f64 v[8:9], v[104:105], s[6:7], -v[227:228]
	s_delay_alu instid0(VALU_DEP_4) | instskip(NEXT) | instid1(VALU_DEP_3)
	v_add_f64_e32 v[2:3], v[4:5], v[2:3]
	v_add_f64_e32 v[18:19], v[6:7], v[0:1]
	s_clause 0x1
	scratch_load_b32 v0, off, off
	scratch_load_b32 v1, off, off offset:8 th:TH_LOAD_LU
	v_add_f64_e32 v[16:17], v[8:9], v[2:3]
	s_wait_loadcnt 0x1
	v_mul_lo_u16 v0, v0, 17
	s_delay_alu instid0(VALU_DEP_1) | instskip(SKIP_1) | instid1(VALU_DEP_1)
	v_and_b32_e32 v0, 0xffff, v0
	s_wait_loadcnt 0x0
	v_lshl_add_u32 v0, v0, 4, v1
	scratch_load_b128 v[1:4], off, off offset:128 th:TH_LOAD_LU ; 16-byte Folded Reload
	s_wait_loadcnt 0x0
	ds_store_b128 v0, v[1:4]
	ds_store_b128 v0, v[131:134] offset:16
	ds_store_b128 v0, v[135:138] offset:32
	ds_store_b128 v0, v[139:142] offset:48
	ds_store_b128 v0, v[143:146] offset:64
	ds_store_b128 v0, v[88:91] offset:80
	ds_store_b128 v0, v[155:158] offset:96
	ds_store_b128 v0, v[163:166] offset:112
	ds_store_b128 v0, v[179:182] offset:128
	scratch_load_b128 v[1:4], off, off offset:144 th:TH_LOAD_LU ; 16-byte Folded Reload
	s_wait_loadcnt 0x0
	ds_store_b128 v0, v[1:4] offset:144
	ds_store_b128 v0, v[175:178] offset:160
	;; [unrolled: 1-line block ×8, first 2 shown]
.LBB0_13:
	s_or_b32 exec_lo, exec_lo, s33
	global_wb scope:SCOPE_SE
	s_wait_storecnt_dscnt 0x0
	s_barrier_signal -1
	s_barrier_wait -1
	global_inv scope:SCOPE_SE
	ds_load_b128 v[0:3], v255 offset:272
	ds_load_b128 v[8:11], v255 offset:2720
	;; [unrolled: 1-line block ×9, first 2 shown]
	s_clause 0x3
	scratch_load_b128 v[84:87], off, off offset:12 th:TH_LOAD_LU
	scratch_load_b128 v[90:93], off, off offset:44 th:TH_LOAD_LU
	;; [unrolled: 1-line block ×4, first 2 shown]
	s_mov_b32 s6, 0xf8bb580b
	s_mov_b32 s8, 0x8764f0ba
	s_mov_b32 s14, 0x8eee2c13
	s_mov_b32 s16, 0xd9c712b6
	s_mov_b32 s7, 0xbfe14ced
	s_mov_b32 s9, 0x3feaeb8c
	s_mov_b32 s15, 0xbfed1bb4
	s_mov_b32 s17, 0x3fda9628
	s_mov_b32 s20, 0x43842ef
	s_mov_b32 s22, 0x640f44db
	s_mov_b32 s21, 0xbfefac9e
	s_wait_dscnt 0x7
	v_mul_f64_e32 v[24:25], v[249:250], v[8:9]
	v_mul_f64_e32 v[44:45], v[249:250], v[10:11]
	v_mul_f64_e32 v[4:5], v[34:35], v[2:3]
	v_mul_f64_e32 v[6:7], v[34:35], v[0:1]
	s_wait_dscnt 0x5
	v_mul_f64_e32 v[28:29], v[253:254], v[16:17]
	v_mul_f64_e32 v[48:49], v[253:254], v[18:19]
	s_mov_b32 s23, 0xbfc2375f
	s_mov_b32 s26, 0xbb3a28a1
	;; [unrolled: 1-line block ×11, first 2 shown]
	s_wait_alu 0xfffe
	s_mov_b32 s10, s6
	s_mov_b32 s18, s14
	;; [unrolled: 1-line block ×8, first 2 shown]
	v_fma_f64 v[8:9], v[247:248], v[8:9], v[44:45]
	v_fma_f64 v[36:37], v[32:33], v[0:1], v[4:5]
	v_fma_f64 v[38:39], v[32:33], v[2:3], -v[6:7]
	ds_load_b128 v[32:35], v255 offset:1632
	ds_load_b128 v[0:3], v255
	v_fma_f64 v[4:5], v[247:248], v[10:11], -v[24:25]
	v_fma_f64 v[6:7], v[251:252], v[18:19], -v[28:29]
	v_fma_f64 v[10:11], v[251:252], v[16:17], v[48:49]
	s_wait_dscnt 0x0
	v_add_f64_e32 v[28:29], v[2:3], v[38:39]
	s_delay_alu instid0(VALU_DEP_4)
	v_add_f64_e64 v[48:49], v[38:39], -v[4:5]
	v_add_f64_e32 v[38:39], v[38:39], v[4:5]
	s_wait_loadcnt 0x3
	v_mul_f64_e32 v[26:27], v[86:87], v[12:13]
	v_mul_f64_e32 v[30:31], v[86:87], v[14:15]
	scratch_load_b128 v[86:89], off, off offset:28 th:TH_LOAD_LU ; 16-byte Folded Reload
	s_wait_loadcnt 0x2
	v_mul_f64_e32 v[42:43], v[98:99], v[64:65]
	v_mul_f64_e32 v[52:53], v[98:99], v[66:67]
	scratch_load_b128 v[98:101], off, off offset:92 th:TH_LOAD_LU ; 16-byte Folded Reload
	v_mul_f64_e32 v[40:41], v[92:93], v[20:21]
	v_mul_f64_e32 v[46:47], v[92:93], v[22:23]
	scratch_load_b128 v[92:95], off, off offset:60 th:TH_LOAD_LU ; 16-byte Folded Reload
	s_wait_loadcnt 0x3
	v_mul_f64_e32 v[62:63], v[104:105], v[72:73]
	v_mul_f64_e32 v[60:61], v[104:105], v[74:75]
	v_fma_f64 v[24:25], v[84:85], v[14:15], -v[26:27]
	v_fma_f64 v[18:19], v[84:85], v[12:13], v[30:31]
	v_add_f64_e32 v[26:27], v[0:1], v[36:37]
	v_fma_f64 v[12:13], v[96:97], v[66:67], -v[42:43]
	v_fma_f64 v[14:15], v[96:97], v[64:65], v[52:53]
	v_mul_f64_e32 v[84:85], s[14:15], v[48:49]
	v_fma_f64 v[22:23], v[90:91], v[22:23], -v[40:41]
	v_fma_f64 v[20:21], v[90:91], v[20:21], v[46:47]
	v_mul_f64_e32 v[90:91], s[22:23], v[38:39]
	v_fma_f64 v[46:47], v[102:103], v[74:75], -v[62:63]
	v_fma_f64 v[44:45], v[102:103], v[72:73], v[60:61]
	v_add_f64_e32 v[52:53], v[24:25], v[6:7]
	v_add_f64_e32 v[26:27], v[26:27], v[18:19]
	;; [unrolled: 1-line block ×3, first 2 shown]
	v_add_f64_e64 v[62:63], v[20:21], -v[14:15]
	s_delay_alu instid0(VALU_DEP_4)
	v_mul_f64_e32 v[102:103], s[36:37], v[52:53]
	v_mul_f64_e32 v[106:107], s[22:23], v[52:53]
	v_add_f64_e32 v[20:21], v[26:27], v[20:21]
	s_wait_loadcnt 0x2
	v_mul_f64_e32 v[50:51], v[88:89], v[70:71]
	v_mul_f64_e32 v[54:55], v[88:89], v[68:69]
	;; [unrolled: 1-line block ×3, first 2 shown]
	s_wait_loadcnt 0x1
	v_mul_f64_e32 v[82:83], v[100:101], v[32:33]
	v_mul_f64_e32 v[80:81], v[100:101], v[34:35]
	s_wait_loadcnt 0x0
	v_mul_f64_e32 v[56:57], v[94:95], v[78:79]
	v_mul_f64_e32 v[58:59], v[94:95], v[76:77]
	;; [unrolled: 1-line block ×3, first 2 shown]
	v_fma_f64 v[16:17], v[86:87], v[68:69], v[50:51]
	v_add_f64_e64 v[50:51], v[24:25], -v[6:7]
	v_add_f64_e32 v[24:25], v[28:29], v[24:25]
	v_fma_f64 v[34:35], v[98:99], v[34:35], -v[82:83]
	v_fma_f64 v[30:31], v[86:87], v[70:71], -v[54:55]
	v_add_f64_e64 v[28:29], v[22:23], -v[12:13]
	v_fma_f64 v[40:41], v[92:93], v[76:77], v[56:57]
	v_add_f64_e32 v[54:55], v[22:23], v[12:13]
	v_fma_f64 v[42:43], v[92:93], v[78:79], -v[58:59]
	v_fma_f64 v[32:33], v[98:99], v[32:33], v[80:81]
	v_add_f64_e32 v[56:57], v[36:37], v[8:9]
	v_add_f64_e64 v[36:37], v[36:37], -v[8:9]
	v_mul_f64_e32 v[80:81], s[6:7], v[48:49]
	v_mul_f64_e32 v[82:83], s[8:9], v[38:39]
	;; [unrolled: 1-line block ×6, first 2 shown]
	v_add_f64_e32 v[58:59], v[18:19], v[10:11]
	v_add_f64_e64 v[18:19], v[18:19], -v[10:11]
	v_mul_f64_e32 v[98:99], s[16:17], v[52:53]
	v_mul_f64_e32 v[96:97], s[14:15], v[50:51]
	v_add_f64_e32 v[22:23], v[24:25], v[22:23]
	v_add_f64_e32 v[74:75], v[46:47], v[34:35]
	v_mul_f64_e32 v[100:101], s[26:27], v[50:51]
	v_mul_f64_e32 v[24:25], s[28:29], v[52:53]
	v_add_f64_e32 v[64:65], v[16:17], v[40:41]
	v_add_f64_e64 v[70:71], v[16:17], -v[40:41]
	v_add_f64_e32 v[16:17], v[20:21], v[16:17]
	v_add_f64_e32 v[66:67], v[30:31], v[42:43]
	v_add_f64_e64 v[68:69], v[30:31], -v[42:43]
	v_fma_f64 v[158:159], v[56:57], s[16:17], v[84:85]
	s_wait_alu 0xfffe
	v_mul_f64_e32 v[26:27], s[38:39], v[50:51]
	v_fma_f64 v[84:85], v[56:57], s[16:17], -v[84:85]
	v_fma_f64 v[160:161], v[36:37], s[18:19], v[86:87]
	v_fma_f64 v[162:163], v[56:57], s[22:23], v[88:89]
	;; [unrolled: 1-line block ×3, first 2 shown]
	v_mul_f64_e32 v[104:105], s[24:25], v[50:51]
	v_fma_f64 v[88:89], v[56:57], s[22:23], -v[88:89]
	v_fma_f64 v[166:167], v[56:57], s[28:29], v[92:93]
	v_fma_f64 v[168:169], v[36:37], s[30:31], v[94:95]
	v_mul_f64_e32 v[50:51], s[10:11], v[50:51]
	v_mul_f64_e32 v[52:53], s[8:9], v[52:53]
	v_fma_f64 v[92:93], v[56:57], s[28:29], -v[92:93]
	v_fma_f64 v[170:171], v[56:57], s[36:37], v[48:49]
	v_fma_f64 v[172:173], v[36:37], s[38:39], v[38:39]
	;; [unrolled: 1-line block ×5, first 2 shown]
	v_fma_f64 v[48:49], v[56:57], s[36:37], -v[48:49]
	v_mul_f64_e32 v[108:109], s[20:21], v[28:29]
	v_mul_f64_e32 v[110:111], s[22:23], v[54:55]
	;; [unrolled: 1-line block ×6, first 2 shown]
	v_fma_f64 v[180:181], v[18:19], s[34:35], v[102:103]
	v_mul_f64_e32 v[122:123], s[6:7], v[28:29]
	v_mul_f64_e32 v[124:125], s[8:9], v[54:55]
	v_fma_f64 v[184:185], v[18:19], s[20:21], v[106:107]
	v_add_f64_e32 v[20:21], v[22:23], v[30:31]
	v_mul_f64_e32 v[144:145], s[36:37], v[74:75]
	v_mul_f64_e32 v[148:149], s[8:9], v[74:75]
	;; [unrolled: 1-line block ×5, first 2 shown]
	v_fma_f64 v[30:31], v[56:57], s[8:9], v[80:81]
	v_fma_f64 v[74:75], v[36:37], s[10:11], v[82:83]
	v_fma_f64 v[80:81], v[56:57], s[8:9], -v[80:81]
	v_fma_f64 v[82:83], v[36:37], s[6:7], v[82:83]
	v_fma_f64 v[36:37], v[36:37], s[34:35], v[38:39]
	v_add_f64_e32 v[16:17], v[16:17], v[44:45]
	v_fma_f64 v[38:39], v[58:59], s[16:17], v[96:97]
	v_fma_f64 v[56:57], v[18:19], s[18:19], v[98:99]
	v_fma_f64 v[96:97], v[58:59], s[16:17], -v[96:97]
	v_fma_f64 v[98:99], v[18:19], s[14:15], v[98:99]
	v_fma_f64 v[174:175], v[58:59], s[28:29], v[100:101]
	;; [unrolled: 1-line block ×3, first 2 shown]
	v_add_f64_e32 v[158:159], v[0:1], v[158:159]
	v_add_f64_e32 v[160:161], v[2:3], v[160:161]
	v_fma_f64 v[100:101], v[58:59], s[28:29], -v[100:101]
	v_fma_f64 v[178:179], v[58:59], s[36:37], v[26:27]
	v_add_f64_e32 v[84:85], v[0:1], v[84:85]
	v_add_f64_e32 v[162:163], v[0:1], v[162:163]
	;; [unrolled: 1-line block ×3, first 2 shown]
	v_fma_f64 v[26:27], v[58:59], s[36:37], -v[26:27]
	v_fma_f64 v[182:183], v[58:59], s[22:23], v[104:105]
	v_add_f64_e32 v[88:89], v[0:1], v[88:89]
	v_add_f64_e32 v[166:167], v[0:1], v[166:167]
	;; [unrolled: 1-line block ×4, first 2 shown]
	v_add_f64_e64 v[76:77], v[44:45], -v[32:33]
	v_add_f64_e64 v[78:79], v[46:47], -v[34:35]
	v_mul_f64_e32 v[28:29], s[26:27], v[28:29]
	v_mul_f64_e32 v[54:55], s[28:29], v[54:55]
	v_fma_f64 v[104:105], v[58:59], s[22:23], -v[104:105]
	v_fma_f64 v[44:45], v[18:19], s[24:25], v[106:107]
	v_fma_f64 v[106:107], v[18:19], s[6:7], v[52:53]
	v_add_f64_e32 v[20:21], v[20:21], v[46:47]
	v_fma_f64 v[46:47], v[58:59], s[8:9], v[50:51]
	v_add_f64_e32 v[92:93], v[0:1], v[92:93]
	v_add_f64_e32 v[170:171], v[0:1], v[170:171]
	;; [unrolled: 1-line block ×3, first 2 shown]
	v_fma_f64 v[24:25], v[18:19], s[26:27], v[24:25]
	v_add_f64_e32 v[30:31], v[0:1], v[30:31]
	v_fma_f64 v[102:103], v[18:19], s[38:39], v[102:103]
	v_add_f64_e32 v[80:81], v[0:1], v[80:81]
	v_add_f64_e32 v[82:83], v[2:3], v[82:83]
	v_fma_f64 v[50:51], v[58:59], s[8:9], -v[50:51]
	v_fma_f64 v[18:19], v[18:19], s[10:11], v[52:53]
	v_add_f64_e32 v[0:1], v[0:1], v[48:49]
	v_add_f64_e32 v[36:37], v[2:3], v[36:37]
	;; [unrolled: 1-line block ×7, first 2 shown]
	v_mul_f64_e32 v[126:127], s[26:27], v[68:69]
	v_mul_f64_e32 v[128:129], s[28:29], v[66:67]
	;; [unrolled: 1-line block ×4, first 2 shown]
	v_fma_f64 v[52:53], v[60:61], s[22:23], v[108:109]
	v_fma_f64 v[58:59], v[62:63], s[24:25], v[110:111]
	v_fma_f64 v[108:109], v[60:61], s[22:23], -v[108:109]
	v_fma_f64 v[110:111], v[62:63], s[20:21], v[110:111]
	v_fma_f64 v[186:187], v[60:61], s[36:37], v[112:113]
	;; [unrolled: 1-line block ×3, first 2 shown]
	v_mul_f64_e32 v[134:135], s[6:7], v[68:69]
	v_mul_f64_e32 v[136:137], s[8:9], v[66:67]
	v_fma_f64 v[190:191], v[60:61], s[16:17], v[116:117]
	v_fma_f64 v[192:193], v[62:63], s[14:15], v[118:119]
	v_add_f64_e32 v[84:85], v[100:101], v[84:85]
	v_add_f64_e32 v[100:101], v[180:181], v[164:165]
	v_mul_f64_e32 v[138:139], s[34:35], v[68:69]
	v_mul_f64_e32 v[140:141], s[36:37], v[66:67]
	v_fma_f64 v[32:33], v[60:61], s[8:9], v[122:123]
	v_add_f64_e32 v[20:21], v[20:21], v[34:35]
	v_fma_f64 v[34:35], v[62:63], s[10:11], v[124:125]
	v_add_f64_e32 v[26:27], v[26:27], v[88:89]
	v_add_f64_e32 v[88:89], v[182:183], v[166:167]
	v_mul_f64_e32 v[68:69], s[18:19], v[68:69]
	v_mul_f64_e32 v[66:67], s[16:17], v[66:67]
	v_add_f64_e32 v[30:31], v[38:39], v[30:31]
	v_fma_f64 v[74:75], v[60:61], s[8:9], -v[122:123]
	v_add_f64_e32 v[38:39], v[96:97], v[80:81]
	v_add_f64_e32 v[80:81], v[98:99], v[82:83]
	v_add_f64_e32 v[82:83], v[174:175], v[158:159]
	v_add_f64_e32 v[96:97], v[176:177], v[160:161]
	v_add_f64_e32 v[98:99], v[178:179], v[162:163]
	v_add_f64_e32 v[158:159], v[184:185], v[168:169]
	v_fma_f64 v[94:95], v[62:63], s[6:7], v[124:125]
	v_fma_f64 v[122:123], v[60:61], s[28:29], v[28:29]
	v_fma_f64 v[124:125], v[62:63], s[30:31], v[54:55]
	v_add_f64_e32 v[92:93], v[104:105], v[92:93]
	v_add_f64_e32 v[46:47], v[46:47], v[170:171]
	;; [unrolled: 1-line block ×3, first 2 shown]
	v_fma_f64 v[112:113], v[60:61], s[36:37], -v[112:113]
	v_fma_f64 v[28:29], v[60:61], s[28:29], -v[28:29]
	v_fma_f64 v[54:55], v[62:63], s[26:27], v[54:55]
	v_add_f64_e32 v[0:1], v[50:51], v[0:1]
	v_add_f64_e32 v[18:19], v[18:19], v[36:37]
	v_fma_f64 v[116:117], v[60:61], s[16:17], -v[116:117]
	v_add_f64_e32 v[36:37], v[44:45], v[48:49]
	v_fma_f64 v[118:119], v[62:63], s[18:19], v[118:119]
	v_add_f64_e32 v[44:45], v[102:103], v[90:91]
	v_fma_f64 v[114:115], v[62:63], s[38:39], v[114:115]
	v_add_f64_e32 v[24:25], v[24:25], v[86:87]
	v_add_f64_e32 v[16:17], v[16:17], v[40:41]
	;; [unrolled: 1-line block ×3, first 2 shown]
	v_mul_f64_e32 v[146:147], s[10:11], v[78:79]
	v_fma_f64 v[60:61], v[64:65], s[28:29], v[126:127]
	v_fma_f64 v[62:63], v[70:71], s[30:31], v[128:129]
	v_fma_f64 v[126:127], v[64:65], s[28:29], -v[126:127]
	v_fma_f64 v[128:129], v[70:71], s[26:27], v[128:129]
	v_add_f64_e32 v[20:21], v[20:21], v[42:43]
	v_fma_f64 v[194:195], v[64:65], s[22:23], v[130:131]
	v_fma_f64 v[196:197], v[70:71], s[20:21], v[132:133]
	v_mul_f64_e32 v[142:143], s[34:35], v[78:79]
	v_mul_f64_e32 v[150:151], s[26:27], v[78:79]
	v_fma_f64 v[40:41], v[64:65], s[8:9], v[134:135]
	v_add_f64_e32 v[30:31], v[52:53], v[30:31]
	v_fma_f64 v[42:43], v[70:71], s[10:11], v[136:137]
	v_add_f64_e32 v[38:39], v[108:109], v[38:39]
	v_add_f64_e32 v[52:53], v[110:111], v[80:81]
	;; [unrolled: 1-line block ×6, first 2 shown]
	v_mul_f64_e32 v[154:155], s[18:19], v[78:79]
	v_fma_f64 v[56:57], v[64:65], s[36:37], v[138:139]
	v_fma_f64 v[86:87], v[70:71], s[38:39], v[140:141]
	v_add_f64_e32 v[32:33], v[32:33], v[88:89]
	v_add_f64_e32 v[34:35], v[34:35], v[158:159]
	v_mul_f64_e32 v[78:79], s[20:21], v[78:79]
	v_fma_f64 v[48:49], v[64:65], s[8:9], -v[134:135]
	v_fma_f64 v[106:107], v[64:65], s[16:17], v[68:69]
	v_fma_f64 v[134:135], v[70:71], s[14:15], v[66:67]
	v_add_f64_e32 v[46:47], v[122:123], v[46:47]
	v_add_f64_e32 v[88:89], v[124:125], v[104:105]
	v_fma_f64 v[130:131], v[64:65], s[22:23], -v[130:131]
	v_fma_f64 v[90:91], v[64:65], s[36:37], -v[138:139]
	;; [unrolled: 1-line block ×3, first 2 shown]
	v_fma_f64 v[66:67], v[70:71], s[18:19], v[66:67]
	v_add_f64_e32 v[84:85], v[112:113], v[84:85]
	v_add_f64_e32 v[0:1], v[28:29], v[0:1]
	;; [unrolled: 1-line block ×3, first 2 shown]
	v_fma_f64 v[102:103], v[70:71], s[34:35], v[140:141]
	v_add_f64_e32 v[26:27], v[116:117], v[26:27]
	v_add_f64_e32 v[74:75], v[74:75], v[92:93]
	;; [unrolled: 1-line block ×3, first 2 shown]
	v_fma_f64 v[50:51], v[70:71], s[6:7], v[136:137]
	v_add_f64_e32 v[36:37], v[118:119], v[44:45]
	v_fma_f64 v[132:133], v[70:71], s[24:25], v[132:133]
	v_add_f64_e32 v[24:25], v[114:115], v[24:25]
	v_add_f64_e32 v[14:15], v[16:17], v[14:15]
	;; [unrolled: 1-line block ×4, first 2 shown]
	v_fma_f64 v[70:71], v[76:77], s[38:39], v[144:145]
	v_fma_f64 v[138:139], v[76:77], s[34:35], v[144:145]
	;; [unrolled: 1-line block ×11, first 2 shown]
	v_add_f64_e32 v[22:23], v[60:61], v[30:31]
	v_add_f64_e32 v[30:31], v[126:127], v[38:39]
	;; [unrolled: 1-line block ×5, first 2 shown]
	v_fma_f64 v[68:69], v[72:73], s[36:37], v[142:143]
	v_fma_f64 v[58:59], v[72:73], s[28:29], v[150:151]
	v_add_f64_e32 v[40:41], v[40:41], v[96:97]
	v_add_f64_e32 v[42:43], v[42:43], v[98:99]
	v_fma_f64 v[136:137], v[72:73], s[36:37], -v[142:143]
	v_fma_f64 v[104:105], v[72:73], s[16:17], v[154:155]
	v_add_f64_e32 v[32:33], v[56:57], v[32:33]
	v_add_f64_e32 v[34:35], v[86:87], v[34:35]
	v_fma_f64 v[114:115], v[72:73], s[22:23], v[78:79]
	v_add_f64_e32 v[46:47], v[106:107], v[46:47]
	v_add_f64_e32 v[56:57], v[134:135], v[88:89]
	v_fma_f64 v[44:45], v[72:73], s[8:9], -v[146:147]
	v_fma_f64 v[94:95], v[72:73], s[28:29], -v[150:151]
	;; [unrolled: 1-line block ×4, first 2 shown]
	v_add_f64_e32 v[78:79], v[130:131], v[84:85]
	v_add_f64_e32 v[64:65], v[64:65], v[0:1]
	;; [unrolled: 1-line block ×33, first 2 shown]
	ds_store_b128 v121, v[14:17] offset:544
	ds_store_b128 v121, v[22:25] offset:816
	;; [unrolled: 1-line block ×9, first 2 shown]
	ds_store_b128 v121, v[6:9]
	ds_store_b128 v121, v[0:3] offset:272
	global_wb scope:SCOPE_SE
	s_wait_dscnt 0x0
	s_barrier_signal -1
	s_barrier_wait -1
	global_inv scope:SCOPE_SE
	s_and_b32 exec_lo, exec_lo, vcc_lo
	s_cbranch_execz .LBB0_15
; %bb.14:
	scratch_load_b32 v18, off, off offset:4 th:TH_LOAD_LU ; 4-byte Folded Reload
	s_mov_b32 s6, 0xb8d015e7
	s_mov_b32 s7, 0x3f75e75b
	s_wait_loadcnt 0x0
	global_load_b128 v[0:3], v18, s[4:5]
	ds_load_b128 v[4:7], v121
	ds_load_b128 v[8:11], v121 offset:176
	scratch_load_b32 v15, off, off th:TH_LOAD_LU ; 4-byte Folded Reload
	s_wait_loadcnt_dscnt 0x101
	v_mul_f64_e32 v[12:13], v[6:7], v[2:3]
	v_mul_f64_e32 v[2:3], v[4:5], v[2:3]
	s_delay_alu instid0(VALU_DEP_2) | instskip(NEXT) | instid1(VALU_DEP_2)
	v_fma_f64 v[4:5], v[4:5], v[0:1], v[12:13]
	v_fma_f64 v[0:1], v[0:1], v[6:7], -v[2:3]
	v_mad_co_u64_u32 v[6:7], null, s2, v120, 0
	s_wait_loadcnt 0x0
	v_mad_co_u64_u32 v[12:13], null, s0, v15, 0
	s_wait_alu 0xfffe
	s_delay_alu instid0(VALU_DEP_4) | instskip(NEXT) | instid1(VALU_DEP_4)
	v_mul_f64_e32 v[2:3], s[6:7], v[4:5]
	v_mul_f64_e32 v[4:5], s[6:7], v[0:1]
	s_delay_alu instid0(VALU_DEP_3) | instskip(NEXT) | instid1(VALU_DEP_1)
	v_dual_mov_b32 v0, v7 :: v_dual_mov_b32 v1, v13
	v_mad_co_u64_u32 v[13:14], null, s3, v120, v[0:1]
	s_mul_u64 s[2:3], s[0:1], 0xb0
	s_delay_alu instid0(VALU_DEP_1) | instskip(SKIP_1) | instid1(VALU_DEP_1)
	v_mov_b32_e32 v7, v13
	v_mad_co_u64_u32 v[0:1], null, s1, v15, v[1:2]
	v_mov_b32_e32 v13, v0
	s_delay_alu instid0(VALU_DEP_3) | instskip(NEXT) | instid1(VALU_DEP_2)
	v_lshlrev_b64_e32 v[0:1], 4, v[6:7]
	v_lshlrev_b64_e32 v[6:7], 4, v[12:13]
	s_delay_alu instid0(VALU_DEP_2) | instskip(NEXT) | instid1(VALU_DEP_3)
	v_add_co_u32 v0, vcc_lo, s12, v0
	v_add_co_ci_u32_e32 v1, vcc_lo, s13, v1, vcc_lo
	s_delay_alu instid0(VALU_DEP_2) | instskip(SKIP_1) | instid1(VALU_DEP_2)
	v_add_co_u32 v6, vcc_lo, v0, v6
	s_wait_alu 0xfffd
	v_add_co_ci_u32_e32 v7, vcc_lo, v1, v7, vcc_lo
	s_wait_alu 0xfffe
	s_delay_alu instid0(VALU_DEP_2)
	v_add_co_u32 v14, vcc_lo, v6, s2
	global_store_b128 v[6:7], v[2:5], off
	global_load_b128 v[2:5], v18, s[4:5] offset:176
	s_wait_alu 0xfffd
	v_add_co_ci_u32_e32 v15, vcc_lo, s3, v7, vcc_lo
	s_wait_loadcnt_dscnt 0x0
	v_mul_f64_e32 v[12:13], v[10:11], v[4:5]
	v_mul_f64_e32 v[4:5], v[8:9], v[4:5]
	s_delay_alu instid0(VALU_DEP_2) | instskip(NEXT) | instid1(VALU_DEP_2)
	v_fma_f64 v[8:9], v[8:9], v[2:3], v[12:13]
	v_fma_f64 v[4:5], v[2:3], v[10:11], -v[4:5]
	s_delay_alu instid0(VALU_DEP_2) | instskip(NEXT) | instid1(VALU_DEP_2)
	v_mul_f64_e32 v[2:3], s[6:7], v[8:9]
	v_mul_f64_e32 v[4:5], s[6:7], v[4:5]
	global_store_b128 v[14:15], v[2:5], off
	global_load_b128 v[2:5], v18, s[4:5] offset:352
	ds_load_b128 v[6:9], v121 offset:352
	ds_load_b128 v[10:13], v121 offset:528
	s_wait_loadcnt_dscnt 0x1
	v_mul_f64_e32 v[16:17], v[8:9], v[4:5]
	v_mul_f64_e32 v[4:5], v[6:7], v[4:5]
	s_delay_alu instid0(VALU_DEP_2) | instskip(NEXT) | instid1(VALU_DEP_2)
	v_fma_f64 v[6:7], v[6:7], v[2:3], v[16:17]
	v_fma_f64 v[4:5], v[2:3], v[8:9], -v[4:5]
	s_delay_alu instid0(VALU_DEP_2) | instskip(NEXT) | instid1(VALU_DEP_2)
	v_mul_f64_e32 v[2:3], s[6:7], v[6:7]
	v_mul_f64_e32 v[4:5], s[6:7], v[4:5]
	v_add_co_u32 v6, vcc_lo, v14, s2
	s_wait_alu 0xfffd
	v_add_co_ci_u32_e32 v7, vcc_lo, s3, v15, vcc_lo
	s_delay_alu instid0(VALU_DEP_2) | instskip(SKIP_1) | instid1(VALU_DEP_2)
	v_add_co_u32 v14, vcc_lo, v6, s2
	s_wait_alu 0xfffd
	v_add_co_ci_u32_e32 v15, vcc_lo, s3, v7, vcc_lo
	global_store_b128 v[6:7], v[2:5], off
	global_load_b128 v[2:5], v18, s[4:5] offset:528
	s_wait_loadcnt_dscnt 0x0
	v_mul_f64_e32 v[8:9], v[12:13], v[4:5]
	v_mul_f64_e32 v[4:5], v[10:11], v[4:5]
	s_delay_alu instid0(VALU_DEP_2) | instskip(NEXT) | instid1(VALU_DEP_2)
	v_fma_f64 v[8:9], v[10:11], v[2:3], v[8:9]
	v_fma_f64 v[4:5], v[2:3], v[12:13], -v[4:5]
	s_delay_alu instid0(VALU_DEP_2) | instskip(NEXT) | instid1(VALU_DEP_2)
	v_mul_f64_e32 v[2:3], s[6:7], v[8:9]
	v_mul_f64_e32 v[4:5], s[6:7], v[4:5]
	global_store_b128 v[14:15], v[2:5], off
	global_load_b128 v[2:5], v18, s[4:5] offset:704
	ds_load_b128 v[6:9], v121 offset:704
	ds_load_b128 v[10:13], v121 offset:880
	s_wait_loadcnt_dscnt 0x1
	v_mul_f64_e32 v[16:17], v[8:9], v[4:5]
	v_mul_f64_e32 v[4:5], v[6:7], v[4:5]
	s_delay_alu instid0(VALU_DEP_2) | instskip(NEXT) | instid1(VALU_DEP_2)
	v_fma_f64 v[6:7], v[6:7], v[2:3], v[16:17]
	v_fma_f64 v[4:5], v[2:3], v[8:9], -v[4:5]
	s_delay_alu instid0(VALU_DEP_2) | instskip(NEXT) | instid1(VALU_DEP_2)
	v_mul_f64_e32 v[2:3], s[6:7], v[6:7]
	v_mul_f64_e32 v[4:5], s[6:7], v[4:5]
	v_add_co_u32 v6, vcc_lo, v14, s2
	s_wait_alu 0xfffd
	v_add_co_ci_u32_e32 v7, vcc_lo, s3, v15, vcc_lo
	s_delay_alu instid0(VALU_DEP_2) | instskip(SKIP_1) | instid1(VALU_DEP_2)
	v_add_co_u32 v14, vcc_lo, v6, s2
	s_wait_alu 0xfffd
	v_add_co_ci_u32_e32 v15, vcc_lo, s3, v7, vcc_lo
	global_store_b128 v[6:7], v[2:5], off
	global_load_b128 v[2:5], v18, s[4:5] offset:880
	;; [unrolled: 31-line block ×6, first 2 shown]
	s_wait_loadcnt_dscnt 0x0
	v_mul_f64_e32 v[8:9], v[12:13], v[4:5]
	v_mul_f64_e32 v[4:5], v[10:11], v[4:5]
	s_delay_alu instid0(VALU_DEP_2) | instskip(NEXT) | instid1(VALU_DEP_2)
	v_fma_f64 v[8:9], v[10:11], v[2:3], v[8:9]
	v_fma_f64 v[4:5], v[2:3], v[12:13], -v[4:5]
	s_delay_alu instid0(VALU_DEP_2) | instskip(NEXT) | instid1(VALU_DEP_2)
	v_mul_f64_e32 v[2:3], s[6:7], v[8:9]
	v_mul_f64_e32 v[4:5], s[6:7], v[4:5]
	global_store_b128 v[14:15], v[2:5], off
	global_load_b128 v[2:5], v18, s[4:5] offset:2464
	ds_load_b128 v[6:9], v121 offset:2464
	ds_load_b128 v[10:13], v121 offset:2640
	s_wait_loadcnt_dscnt 0x1
	v_mul_f64_e32 v[16:17], v[8:9], v[4:5]
	v_mul_f64_e32 v[4:5], v[6:7], v[4:5]
	s_delay_alu instid0(VALU_DEP_2) | instskip(NEXT) | instid1(VALU_DEP_2)
	v_fma_f64 v[6:7], v[6:7], v[2:3], v[16:17]
	v_fma_f64 v[4:5], v[2:3], v[8:9], -v[4:5]
	s_delay_alu instid0(VALU_DEP_2) | instskip(NEXT) | instid1(VALU_DEP_2)
	v_mul_f64_e32 v[2:3], s[6:7], v[6:7]
	v_mul_f64_e32 v[4:5], s[6:7], v[4:5]
	v_add_co_u32 v6, vcc_lo, v14, s2
	s_wait_alu 0xfffd
	v_add_co_ci_u32_e32 v7, vcc_lo, s3, v15, vcc_lo
	global_store_b128 v[6:7], v[2:5], off
	global_load_b128 v[2:5], v18, s[4:5] offset:2640
	v_add_co_u32 v6, vcc_lo, v6, s2
	s_wait_alu 0xfffd
	v_add_co_ci_u32_e32 v7, vcc_lo, s3, v7, vcc_lo
	s_wait_loadcnt_dscnt 0x0
	v_mul_f64_e32 v[8:9], v[12:13], v[4:5]
	v_mul_f64_e32 v[4:5], v[10:11], v[4:5]
	s_delay_alu instid0(VALU_DEP_2) | instskip(NEXT) | instid1(VALU_DEP_2)
	v_fma_f64 v[8:9], v[10:11], v[2:3], v[8:9]
	v_fma_f64 v[4:5], v[2:3], v[12:13], -v[4:5]
	s_delay_alu instid0(VALU_DEP_2) | instskip(NEXT) | instid1(VALU_DEP_2)
	v_mul_f64_e32 v[2:3], s[6:7], v[8:9]
	v_mul_f64_e32 v[4:5], s[6:7], v[4:5]
	global_store_b128 v[6:7], v[2:5], off
	global_load_b128 v[2:5], v18, s[4:5] offset:2816
	ds_load_b128 v[6:9], v121 offset:2816
	s_wait_loadcnt_dscnt 0x0
	v_mul_f64_e32 v[10:11], v[8:9], v[4:5]
	v_mul_f64_e32 v[4:5], v[6:7], v[4:5]
	s_delay_alu instid0(VALU_DEP_2) | instskip(SKIP_3) | instid1(VALU_DEP_2)
	v_fma_f64 v[6:7], v[6:7], v[2:3], v[10:11]
	scratch_load_b32 v10, off, off offset:124 th:TH_LOAD_LU ; 4-byte Folded Reload
	v_fma_f64 v[4:5], v[2:3], v[8:9], -v[4:5]
	v_mul_f64_e32 v[2:3], s[6:7], v[6:7]
	v_mul_f64_e32 v[4:5], s[6:7], v[4:5]
	s_wait_loadcnt 0x0
	v_mad_co_u64_u32 v[8:9], null, s0, v10, 0
	s_delay_alu instid0(VALU_DEP_1) | instskip(NEXT) | instid1(VALU_DEP_1)
	v_mov_b32_e32 v6, v9
	v_mad_co_u64_u32 v[6:7], null, s1, v10, v[6:7]
	s_delay_alu instid0(VALU_DEP_1) | instskip(NEXT) | instid1(VALU_DEP_1)
	v_mov_b32_e32 v9, v6
	v_lshlrev_b64_e32 v[6:7], 4, v[8:9]
	s_delay_alu instid0(VALU_DEP_1) | instskip(SKIP_1) | instid1(VALU_DEP_2)
	v_add_co_u32 v0, vcc_lo, v0, v6
	s_wait_alu 0xfffd
	v_add_co_ci_u32_e32 v1, vcc_lo, v1, v7, vcc_lo
	global_store_b128 v[0:1], v[2:5], off
.LBB0_15:
	s_nop 0
	s_sendmsg sendmsg(MSG_DEALLOC_VGPRS)
	s_endpgm
	.section	.rodata,"a",@progbits
	.p2align	6, 0x0
	.amdhsa_kernel bluestein_single_back_len187_dim1_dp_op_CI_CI
		.amdhsa_group_segment_fixed_size 20944
		.amdhsa_private_segment_fixed_size 476
		.amdhsa_kernarg_size 104
		.amdhsa_user_sgpr_count 2
		.amdhsa_user_sgpr_dispatch_ptr 0
		.amdhsa_user_sgpr_queue_ptr 0
		.amdhsa_user_sgpr_kernarg_segment_ptr 1
		.amdhsa_user_sgpr_dispatch_id 0
		.amdhsa_user_sgpr_private_segment_size 0
		.amdhsa_wavefront_size32 1
		.amdhsa_uses_dynamic_stack 0
		.amdhsa_enable_private_segment 1
		.amdhsa_system_sgpr_workgroup_id_x 1
		.amdhsa_system_sgpr_workgroup_id_y 0
		.amdhsa_system_sgpr_workgroup_id_z 0
		.amdhsa_system_sgpr_workgroup_info 0
		.amdhsa_system_vgpr_workitem_id 0
		.amdhsa_next_free_vgpr 256
		.amdhsa_next_free_sgpr 58
		.amdhsa_reserve_vcc 1
		.amdhsa_float_round_mode_32 0
		.amdhsa_float_round_mode_16_64 0
		.amdhsa_float_denorm_mode_32 3
		.amdhsa_float_denorm_mode_16_64 3
		.amdhsa_fp16_overflow 0
		.amdhsa_workgroup_processor_mode 1
		.amdhsa_memory_ordered 1
		.amdhsa_forward_progress 0
		.amdhsa_round_robin_scheduling 0
		.amdhsa_exception_fp_ieee_invalid_op 0
		.amdhsa_exception_fp_denorm_src 0
		.amdhsa_exception_fp_ieee_div_zero 0
		.amdhsa_exception_fp_ieee_overflow 0
		.amdhsa_exception_fp_ieee_underflow 0
		.amdhsa_exception_fp_ieee_inexact 0
		.amdhsa_exception_int_div_zero 0
	.end_amdhsa_kernel
	.text
.Lfunc_end0:
	.size	bluestein_single_back_len187_dim1_dp_op_CI_CI, .Lfunc_end0-bluestein_single_back_len187_dim1_dp_op_CI_CI
                                        ; -- End function
	.section	.AMDGPU.csdata,"",@progbits
; Kernel info:
; codeLenInByte = 22264
; NumSgprs: 60
; NumVgprs: 256
; ScratchSize: 476
; MemoryBound: 0
; FloatMode: 240
; IeeeMode: 1
; LDSByteSize: 20944 bytes/workgroup (compile time only)
; SGPRBlocks: 7
; VGPRBlocks: 31
; NumSGPRsForWavesPerEU: 60
; NumVGPRsForWavesPerEU: 256
; Occupancy: 5
; WaveLimiterHint : 1
; COMPUTE_PGM_RSRC2:SCRATCH_EN: 1
; COMPUTE_PGM_RSRC2:USER_SGPR: 2
; COMPUTE_PGM_RSRC2:TRAP_HANDLER: 0
; COMPUTE_PGM_RSRC2:TGID_X_EN: 1
; COMPUTE_PGM_RSRC2:TGID_Y_EN: 0
; COMPUTE_PGM_RSRC2:TGID_Z_EN: 0
; COMPUTE_PGM_RSRC2:TIDIG_COMP_CNT: 0
	.text
	.p2alignl 7, 3214868480
	.fill 96, 4, 3214868480
	.type	__hip_cuid_d0fea1154bcbef9d,@object ; @__hip_cuid_d0fea1154bcbef9d
	.section	.bss,"aw",@nobits
	.globl	__hip_cuid_d0fea1154bcbef9d
__hip_cuid_d0fea1154bcbef9d:
	.byte	0                               ; 0x0
	.size	__hip_cuid_d0fea1154bcbef9d, 1

	.ident	"AMD clang version 19.0.0git (https://github.com/RadeonOpenCompute/llvm-project roc-6.4.0 25133 c7fe45cf4b819c5991fe208aaa96edf142730f1d)"
	.section	".note.GNU-stack","",@progbits
	.addrsig
	.addrsig_sym __hip_cuid_d0fea1154bcbef9d
	.amdgpu_metadata
---
amdhsa.kernels:
  - .args:
      - .actual_access:  read_only
        .address_space:  global
        .offset:         0
        .size:           8
        .value_kind:     global_buffer
      - .actual_access:  read_only
        .address_space:  global
        .offset:         8
        .size:           8
        .value_kind:     global_buffer
      - .actual_access:  read_only
        .address_space:  global
        .offset:         16
        .size:           8
        .value_kind:     global_buffer
      - .actual_access:  read_only
        .address_space:  global
        .offset:         24
        .size:           8
        .value_kind:     global_buffer
      - .actual_access:  read_only
        .address_space:  global
        .offset:         32
        .size:           8
        .value_kind:     global_buffer
      - .offset:         40
        .size:           8
        .value_kind:     by_value
      - .address_space:  global
        .offset:         48
        .size:           8
        .value_kind:     global_buffer
      - .address_space:  global
        .offset:         56
        .size:           8
        .value_kind:     global_buffer
      - .address_space:  global
        .offset:         64
        .size:           8
        .value_kind:     global_buffer
      - .address_space:  global
        .offset:         72
        .size:           8
        .value_kind:     global_buffer
      - .offset:         80
        .size:           4
        .value_kind:     by_value
      - .address_space:  global
        .offset:         88
        .size:           8
        .value_kind:     global_buffer
      - .address_space:  global
        .offset:         96
        .size:           8
        .value_kind:     global_buffer
    .group_segment_fixed_size: 20944
    .kernarg_segment_align: 8
    .kernarg_segment_size: 104
    .language:       OpenCL C
    .language_version:
      - 2
      - 0
    .max_flat_workgroup_size: 119
    .name:           bluestein_single_back_len187_dim1_dp_op_CI_CI
    .private_segment_fixed_size: 476
    .sgpr_count:     60
    .sgpr_spill_count: 0
    .symbol:         bluestein_single_back_len187_dim1_dp_op_CI_CI.kd
    .uniform_work_group_size: 1
    .uses_dynamic_stack: false
    .vgpr_count:     256
    .vgpr_spill_count: 154
    .wavefront_size: 32
    .workgroup_processor_mode: 1
amdhsa.target:   amdgcn-amd-amdhsa--gfx1201
amdhsa.version:
  - 1
  - 2
...

	.end_amdgpu_metadata
